;; amdgpu-corpus repo=ROCm/rocFFT kind=compiled arch=gfx1201 opt=O3
	.text
	.amdgcn_target "amdgcn-amd-amdhsa--gfx1201"
	.amdhsa_code_object_version 6
	.protected	bluestein_single_back_len363_dim1_dp_op_CI_CI ; -- Begin function bluestein_single_back_len363_dim1_dp_op_CI_CI
	.globl	bluestein_single_back_len363_dim1_dp_op_CI_CI
	.p2align	8
	.type	bluestein_single_back_len363_dim1_dp_op_CI_CI,@function
bluestein_single_back_len363_dim1_dp_op_CI_CI: ; @bluestein_single_back_len363_dim1_dp_op_CI_CI
; %bb.0:
	s_load_b128 s[16:19], s[0:1], 0x28
	v_mul_u32_u24_e32 v1, 0x7c2, v0
	s_mov_b32 s2, exec_lo
	s_delay_alu instid0(VALU_DEP_1) | instskip(NEXT) | instid1(VALU_DEP_1)
	v_lshrrev_b32_e32 v1, 16, v1
	v_mad_co_u64_u32 v[164:165], null, ttmp9, 3, v[1:2]
	v_mov_b32_e32 v165, 0
                                        ; kill: def $vgpr2 killed $sgpr0 killed $exec
	s_wait_kmcnt 0x0
	s_delay_alu instid0(VALU_DEP_1)
	v_cmpx_gt_u64_e64 s[16:17], v[164:165]
	s_cbranch_execz .LBB0_10
; %bb.1:
	s_clause 0x1
	s_load_b128 s[4:7], s[0:1], 0x18
	s_load_b128 s[8:11], s[0:1], 0x0
	v_mul_lo_u16 v1, v1, 33
	s_mov_b32 s24, 0xf8bb580b
	s_mov_b32 s25, 0xbfe14ced
	;; [unrolled: 1-line block ×4, first 2 shown]
	v_sub_nc_u16 v68, v0, v1
	s_mov_b32 s22, 0x43842ef
	s_mov_b32 s23, 0xbfefac9e
	;; [unrolled: 1-line block ×4, first 2 shown]
	v_and_b32_e32 v165, 0xffff, v68
	s_mov_b32 s28, 0xfd768dbf
	s_mov_b32 s29, 0xbfd207e7
	;; [unrolled: 1-line block ×7, first 2 shown]
	s_wait_kmcnt 0x0
	s_load_b128 s[12:15], s[4:5], 0x0
	s_mov_b32 s17, 0xbfe4f49e
	s_mov_b32 s35, 0x3fefac9e
	;; [unrolled: 1-line block ×3, first 2 shown]
	s_load_b64 s[0:1], s[0:1], 0x38
	s_wait_kmcnt 0x0
	v_mad_co_u64_u32 v[8:9], null, s12, v165, 0
	v_mad_co_u64_u32 v[0:1], null, s14, v164, 0
	s_mul_u64 s[2:3], s[12:13], 0x210
	s_delay_alu instid0(VALU_DEP_2) | instskip(SKIP_1) | instid1(VALU_DEP_2)
	v_mov_b32_e32 v2, v9
	v_lshlrev_b32_e32 v158, 4, v165
	v_mad_co_u64_u32 v[3:4], null, s15, v164, v[1:2]
	s_mov_b32 s14, 0x640f44db
	s_mov_b32 s15, 0xbfc2375f
	s_delay_alu instid0(VALU_DEP_1) | instskip(SKIP_3) | instid1(VALU_DEP_1)
	v_mad_co_u64_u32 v[4:5], null, s13, v165, v[2:3]
	v_mov_b32_e32 v1, v3
	s_mov_b32 s12, 0xd9c712b6
	s_mov_b32 s13, 0x3fda9628
	v_lshlrev_b64_e32 v[10:11], 4, v[0:1]
	s_delay_alu instid0(VALU_DEP_3)
	v_mov_b32_e32 v9, v4
	s_clause 0x1
	global_load_b128 v[2:5], v158, s[8:9]
	global_load_b128 v[12:15], v158, s[8:9] offset:528
	v_add_co_u32 v0, vcc_lo, s18, v10
	v_lshlrev_b64_e32 v[16:17], 4, v[8:9]
	v_add_co_ci_u32_e32 v1, vcc_lo, s19, v11, vcc_lo
	s_clause 0x5
	global_load_b128 v[6:9], v158, s[8:9] offset:1056
	global_load_b128 v[18:21], v158, s[8:9] offset:1584
	;; [unrolled: 1-line block ×6, first 2 shown]
	v_add_co_u32 v32, vcc_lo, v0, v16
	s_wait_alu 0xfffd
	v_add_co_ci_u32_e32 v33, vcc_lo, v1, v17, vcc_lo
	v_mul_hi_u32 v0, 0xaaaaaaab, v164
	s_delay_alu instid0(VALU_DEP_3) | instskip(SKIP_1) | instid1(VALU_DEP_3)
	v_add_co_u32 v34, vcc_lo, v32, s2
	s_wait_alu 0xfffd
	v_add_co_ci_u32_e32 v35, vcc_lo, s3, v33, vcc_lo
	global_load_b128 v[44:47], v[32:33], off
	v_add_co_u32 v36, vcc_lo, v34, s2
	s_wait_alu 0xfffd
	v_add_co_ci_u32_e32 v37, vcc_lo, s3, v35, vcc_lo
	s_clause 0x1
	global_load_b128 v[48:51], v[34:35], off
	global_load_b128 v[52:55], v[36:37], off
	v_add_co_u32 v38, vcc_lo, v36, s2
	s_wait_alu 0xfffd
	v_add_co_ci_u32_e32 v39, vcc_lo, s3, v37, vcc_lo
	v_lshrrev_b32_e32 v0, 1, v0
	s_delay_alu instid0(VALU_DEP_3) | instskip(SKIP_1) | instid1(VALU_DEP_3)
	v_add_co_u32 v32, vcc_lo, v38, s2
	s_wait_alu 0xfffd
	v_add_co_ci_u32_e32 v33, vcc_lo, s3, v39, vcc_lo
	s_clause 0x1
	global_load_b128 v[56:59], v[38:39], off
	global_load_b128 v[60:63], v[32:33], off
	v_add_co_u32 v34, vcc_lo, v32, s2
	s_wait_alu 0xfffd
	v_add_co_ci_u32_e32 v35, vcc_lo, s3, v33, vcc_lo
	v_lshl_add_u32 v0, v0, 1, v0
	s_delay_alu instid0(VALU_DEP_3) | instskip(SKIP_1) | instid1(VALU_DEP_3)
	v_add_co_u32 v32, vcc_lo, v34, s2
	s_wait_alu 0xfffd
	v_add_co_ci_u32_e32 v33, vcc_lo, s3, v35, vcc_lo
	global_load_b128 v[64:67], v[34:35], off
	v_add_co_u32 v34, vcc_lo, v32, s2
	s_wait_alu 0xfffd
	v_add_co_ci_u32_e32 v35, vcc_lo, s3, v33, vcc_lo
	global_load_b128 v[69:72], v[32:33], off
	;; [unrolled: 4-line block ×4, first 2 shown]
	v_add_co_u32 v85, vcc_lo, v40, s2
	s_wait_alu 0xfffd
	v_add_co_ci_u32_e32 v86, vcc_lo, s3, v41, vcc_lo
	s_clause 0x1
	global_load_b128 v[34:37], v158, s[8:9] offset:4224
	global_load_b128 v[30:33], v158, s[8:9] offset:4752
	global_load_b128 v[81:84], v[40:41], off
	global_load_b128 v[38:41], v158, s[8:9] offset:5280
	global_load_b128 v[85:88], v[85:86], off
	v_sub_nc_u32_e32 v0, v164, v0
	s_load_b128 s[4:7], s[6:7], 0x0
	s_mov_b32 s2, 0x8764f0ba
	s_mov_b32 s3, 0x3feaeb8c
	;; [unrolled: 1-line block ×3, first 2 shown]
	v_mul_u32_u24_e32 v0, 0x16b, v0
	s_mov_b32 s19, 0xbfeeb42a
	v_cmp_gt_u16_e32 vcc_lo, 22, v68
	s_delay_alu instid0(VALU_DEP_2) | instskip(SKIP_1) | instid1(VALU_DEP_2)
	v_lshlrev_b32_e32 v1, 4, v0
	v_mul_lo_u16 v0, v68, 11
	v_add_nc_u32_e32 v166, v158, v1
	s_delay_alu instid0(VALU_DEP_2)
	v_and_b32_e32 v0, 0xffff, v0
	s_wait_loadcnt 0x15
	scratch_store_b128 off, v[2:5], off offset:20 ; 16-byte Folded Spill
	s_wait_loadcnt 0x14
	scratch_store_b128 off, v[12:15], off offset:36 ; 16-byte Folded Spill
	;; [unrolled: 2-line block ×8, first 2 shown]
	s_wait_loadcnt 0xd
	v_mul_f64_e32 v[89:90], v[46:47], v[4:5]
	v_mul_f64_e32 v[91:92], v[44:45], v[4:5]
	s_wait_loadcnt 0xc
	v_mul_f64_e32 v[93:94], v[50:51], v[14:15]
	v_mul_f64_e32 v[95:96], v[48:49], v[14:15]
	;; [unrolled: 3-line block ×7, first 2 shown]
	v_fma_f64 v[44:45], v[44:45], v[2:3], v[89:90]
	s_wait_loadcnt 0x6
	v_mul_f64_e32 v[117:118], v[75:76], v[139:140]
	v_mul_f64_e32 v[119:120], v[73:74], v[139:140]
	v_fma_f64 v[46:47], v[46:47], v[2:3], -v[91:92]
	v_fma_f64 v[48:49], v[48:49], v[12:13], v[93:94]
	s_wait_loadcnt 0x4
	v_mul_f64_e32 v[121:122], v[79:80], v[36:37]
	v_mul_f64_e32 v[123:124], v[77:78], v[36:37]
	s_wait_loadcnt 0x2
	v_mul_f64_e32 v[125:126], v[83:84], v[32:33]
	v_mul_f64_e32 v[127:128], v[81:82], v[32:33]
	;; [unrolled: 3-line block ×3, first 2 shown]
	v_fma_f64 v[50:51], v[50:51], v[12:13], -v[95:96]
	v_fma_f64 v[52:53], v[52:53], v[6:7], v[97:98]
	v_fma_f64 v[54:55], v[54:55], v[6:7], -v[99:100]
	s_clause 0x1
	scratch_store_b128 off, v[34:37], off offset:164
	scratch_store_b128 off, v[30:33], off offset:148
	v_fma_f64 v[56:57], v[56:57], v[18:19], v[101:102]
	v_fma_f64 v[58:59], v[58:59], v[18:19], -v[103:104]
	v_fma_f64 v[60:61], v[60:61], v[22:23], v[105:106]
	v_fma_f64 v[62:63], v[62:63], v[22:23], -v[107:108]
	scratch_store_b128 off, v[38:41], off offset:180 ; 16-byte Folded Spill
	v_fma_f64 v[64:65], v[64:65], v[26:27], v[109:110]
	v_fma_f64 v[66:67], v[66:67], v[26:27], -v[111:112]
	v_fma_f64 v[69:70], v[69:70], v[133:134], v[113:114]
	v_fma_f64 v[71:72], v[71:72], v[133:134], -v[115:116]
	v_fma_f64 v[73:74], v[73:74], v[137:138], v[117:118]
	v_fma_f64 v[75:76], v[75:76], v[137:138], -v[119:120]
	v_fma_f64 v[77:78], v[77:78], v[34:35], v[121:122]
	v_fma_f64 v[79:80], v[79:80], v[34:35], -v[123:124]
	v_fma_f64 v[81:82], v[81:82], v[30:31], v[125:126]
	v_fma_f64 v[83:84], v[83:84], v[30:31], -v[127:128]
	v_fma_f64 v[85:86], v[85:86], v[38:39], v[129:130]
	v_fma_f64 v[87:88], v[87:88], v[38:39], -v[131:132]
	ds_store_b128 v166, v[44:47]
	ds_store_b128 v166, v[48:51] offset:528
	ds_store_b128 v166, v[52:55] offset:1056
	;; [unrolled: 1-line block ×10, first 2 shown]
	global_wb scope:SCOPE_SE
	s_wait_storecnt_dscnt 0x0
	s_wait_kmcnt 0x0
	s_barrier_signal -1
	s_barrier_wait -1
	global_inv scope:SCOPE_SE
	ds_load_b128 v[48:51], v166
	ds_load_b128 v[69:72], v166 offset:528
	ds_load_b128 v[44:47], v166 offset:5280
	;; [unrolled: 1-line block ×10, first 2 shown]
	scratch_store_b32 off, v1, off          ; 4-byte Folded Spill
	global_wb scope:SCOPE_SE
	s_wait_storecnt_dscnt 0x0
	s_barrier_signal -1
	s_barrier_wait -1
	global_inv scope:SCOPE_SE
	v_add_f64_e32 v[89:90], v[48:49], v[69:70]
	v_add_f64_e32 v[91:92], v[50:51], v[71:72]
	v_add_f64_e64 v[93:94], v[71:72], -v[46:47]
	v_add_f64_e64 v[95:96], v[69:70], -v[44:45]
	;; [unrolled: 1-line block ×4, first 2 shown]
	v_add_f64_e32 v[105:106], v[77:78], v[56:57]
	v_add_f64_e32 v[107:108], v[79:80], v[58:59]
	v_add_f64_e64 v[97:98], v[73:74], -v[52:53]
	v_add_f64_e64 v[99:100], v[75:76], -v[54:55]
	v_add_f64_e32 v[69:70], v[69:70], v[44:45]
	v_add_f64_e32 v[71:72], v[71:72], v[46:47]
	v_add_f64_e64 v[121:122], v[85:86], -v[64:65]
	v_add_f64_e32 v[109:110], v[81:82], v[60:61]
	v_add_f64_e64 v[111:112], v[83:84], -v[62:63]
	v_add_f64_e64 v[113:114], v[81:82], -v[60:61]
	v_add_f64_e32 v[115:116], v[83:84], v[62:63]
	v_add_f64_e32 v[117:118], v[85:86], v[64:65]
	;; [unrolled: 1-line block ×3, first 2 shown]
	v_add_f64_e64 v[123:124], v[87:88], -v[66:67]
	v_add_f64_e32 v[89:90], v[89:90], v[73:74]
	v_add_f64_e32 v[91:92], v[91:92], v[75:76]
	v_mul_f64_e32 v[125:126], s[24:25], v[93:94]
	v_mul_f64_e32 v[127:128], s[24:25], v[95:96]
	;; [unrolled: 1-line block ×12, first 2 shown]
	s_mov_b32 s21, 0x3fed1bb4
	v_add_f64_e32 v[73:74], v[73:74], v[52:53]
	v_add_f64_e32 v[75:76], v[75:76], v[54:55]
	v_mul_f64_e32 v[145:146], s[26:27], v[99:100]
	v_mul_f64_e32 v[147:148], s[26:27], v[97:98]
	;; [unrolled: 1-line block ×16, first 2 shown]
	s_wait_alu 0xfffe
	v_mul_f64_e32 v[101:102], s[20:21], v[101:102]
	v_mul_f64_e32 v[103:104], s[20:21], v[103:104]
	;; [unrolled: 1-line block ×5, first 2 shown]
	v_add_f64_e32 v[77:78], v[89:90], v[77:78]
	v_add_f64_e32 v[79:80], v[91:92], v[79:80]
	v_mul_f64_e32 v[89:90], s[36:37], v[99:100]
	v_mul_f64_e32 v[91:92], s[36:37], v[97:98]
	v_fma_f64 v[208:209], v[69:70], s[12:13], -v[129:130]
	v_fma_f64 v[210:211], v[71:72], s[12:13], v[131:132]
	v_fma_f64 v[212:213], v[69:70], s[14:15], -v[133:134]
	v_fma_f64 v[214:215], v[71:72], s[14:15], v[135:136]
	v_fma_f64 v[129:130], v[69:70], s[12:13], v[129:130]
	;; [unrolled: 1-line block ×3, first 2 shown]
	v_fma_f64 v[216:217], v[69:70], s[16:17], -v[137:138]
	v_fma_f64 v[218:219], v[71:72], s[16:17], v[139:140]
	v_mul_f64_e32 v[99:100], s[30:31], v[99:100]
	v_mul_f64_e32 v[97:98], s[30:31], v[97:98]
	v_fma_f64 v[137:138], v[69:70], s[16:17], v[137:138]
	v_fma_f64 v[220:221], v[69:70], s[18:19], -v[93:94]
	v_fma_f64 v[222:223], v[71:72], s[18:19], v[95:96]
	v_fma_f64 v[131:132], v[71:72], s[12:13], -v[131:132]
	v_fma_f64 v[135:136], v[71:72], s[14:15], -v[135:136]
	;; [unrolled: 1-line block ×4, first 2 shown]
	v_fma_f64 v[226:227], v[75:76], s[16:17], v[147:148]
	v_fma_f64 v[145:146], v[73:74], s[16:17], v[145:146]
	v_fma_f64 v[232:233], v[73:74], s[14:15], -v[149:150]
	v_fma_f64 v[234:235], v[75:76], s[14:15], v[151:152]
	v_fma_f64 v[149:150], v[73:74], s[14:15], v[149:150]
	v_fma_f64 v[147:148], v[75:76], s[16:17], -v[147:148]
	v_mul_f64_e32 v[182:183], s[34:35], v[113:114]
	v_mul_f64_e32 v[184:185], s[24:25], v[111:112]
	;; [unrolled: 1-line block ×7, first 2 shown]
	v_fma_f64 v[236:237], v[105:106], s[18:19], -v[159:160]
	v_fma_f64 v[238:239], v[107:108], s[18:19], v[161:162]
	v_fma_f64 v[159:160], v[105:106], s[18:19], v[159:160]
	v_fma_f64 v[161:162], v[107:108], s[18:19], -v[161:162]
	v_add_f64_e32 v[77:78], v[77:78], v[81:82]
	v_add_f64_e32 v[79:80], v[79:80], v[83:84]
	v_mul_f64_e32 v[81:82], s[20:21], v[121:122]
	v_fma_f64 v[83:84], v[69:70], s[2:3], -v[125:126]
	v_fma_f64 v[121:122], v[71:72], s[2:3], v[127:128]
	v_fma_f64 v[125:126], v[69:70], s[2:3], v[125:126]
	v_fma_f64 v[127:128], v[71:72], s[2:3], -v[127:128]
	v_fma_f64 v[69:70], v[69:70], s[18:19], v[93:94]
	v_fma_f64 v[71:72], v[71:72], s[18:19], -v[95:96]
	v_fma_f64 v[93:94], v[73:74], s[12:13], -v[141:142]
	v_fma_f64 v[95:96], v[75:76], s[12:13], v[143:144]
	v_fma_f64 v[141:142], v[73:74], s[12:13], v[141:142]
	v_fma_f64 v[143:144], v[75:76], s[12:13], -v[143:144]
	v_add_f64_e32 v[208:209], v[48:49], v[208:209]
	v_add_f64_e32 v[210:211], v[50:51], v[210:211]
	v_fma_f64 v[228:229], v[73:74], s[18:19], -v[89:90]
	v_fma_f64 v[230:231], v[75:76], s[18:19], v[91:92]
	v_add_f64_e32 v[212:213], v[48:49], v[212:213]
	v_add_f64_e32 v[214:215], v[50:51], v[214:215]
	v_fma_f64 v[89:90], v[73:74], s[18:19], v[89:90]
	v_add_f64_e32 v[129:130], v[48:49], v[129:130]
	v_add_f64_e32 v[133:134], v[48:49], v[133:134]
	;; [unrolled: 1-line block ×7, first 2 shown]
	v_fma_f64 v[91:92], v[75:76], s[18:19], -v[91:92]
	v_add_f64_e32 v[135:136], v[50:51], v[135:136]
	v_add_f64_e32 v[131:132], v[50:51], v[131:132]
	v_fma_f64 v[240:241], v[105:106], s[2:3], -v[168:169]
	v_fma_f64 v[242:243], v[107:108], s[2:3], v[170:171]
	v_fma_f64 v[168:169], v[105:106], s[2:3], v[168:169]
	v_fma_f64 v[170:171], v[107:108], s[2:3], -v[170:171]
	v_fma_f64 v[248:249], v[105:106], s[12:13], -v[101:102]
	v_fma_f64 v[101:102], v[105:106], s[12:13], v[101:102]
	v_mul_f64_e32 v[196:197], s[30:31], v[123:124]
	v_fma_f64 v[244:245], v[109:110], s[14:15], -v[180:181]
	v_add_f64_e32 v[77:78], v[77:78], v[85:86]
	v_add_f64_e32 v[79:80], v[79:80], v[87:88]
	v_fma_f64 v[85:86], v[75:76], s[14:15], -v[151:152]
	v_add_f64_e32 v[83:84], v[48:49], v[83:84]
	v_fma_f64 v[87:88], v[73:74], s[2:3], -v[99:100]
	v_add_f64_e32 v[125:126], v[48:49], v[125:126]
	v_add_f64_e32 v[127:128], v[50:51], v[127:128]
	v_fma_f64 v[151:152], v[75:76], s[2:3], v[97:98]
	v_fma_f64 v[73:74], v[73:74], s[2:3], v[99:100]
	v_fma_f64 v[75:76], v[75:76], s[2:3], -v[97:98]
	v_add_f64_e32 v[48:49], v[48:49], v[69:70]
	v_add_f64_e32 v[69:70], v[50:51], v[71:72]
	;; [unrolled: 1-line block ×4, first 2 shown]
	v_fma_f64 v[97:98], v[105:106], s[14:15], -v[153:154]
	v_fma_f64 v[99:100], v[107:108], s[14:15], v[155:156]
	v_fma_f64 v[153:154], v[105:106], s[14:15], v[153:154]
	v_fma_f64 v[155:156], v[107:108], s[14:15], -v[155:156]
	v_fma_f64 v[121:122], v[105:106], s[16:17], v[172:173]
	v_fma_f64 v[139:140], v[107:108], s[16:17], -v[174:175]
	v_add_f64_e32 v[129:130], v[145:146], v[129:130]
	v_add_f64_e32 v[89:90], v[89:90], v[133:134]
	;; [unrolled: 1-line block ×5, first 2 shown]
	v_fma_f64 v[246:247], v[115:116], s[14:15], v[182:183]
	v_fma_f64 v[180:181], v[109:110], s[14:15], v[180:181]
	v_fma_f64 v[182:183], v[115:116], s[14:15], -v[182:183]
	v_mul_f64_e32 v[200:201], s[26:27], v[123:124]
	v_mul_f64_e32 v[192:193], s[28:29], v[123:124]
	;; [unrolled: 1-line block ×4, first 2 shown]
	v_add_f64_e32 v[64:65], v[77:78], v[64:65]
	v_add_f64_e32 v[66:67], v[79:80], v[66:67]
	v_fma_f64 v[77:78], v[105:106], s[16:17], -v[172:173]
	v_fma_f64 v[79:80], v[107:108], s[16:17], v[174:175]
	v_fma_f64 v[105:106], v[107:108], s[12:13], v[103:104]
	v_fma_f64 v[103:104], v[107:108], s[12:13], -v[103:104]
	v_add_f64_e32 v[83:84], v[93:94], v[83:84]
	v_add_f64_e32 v[93:94], v[141:142], v[125:126]
	;; [unrolled: 1-line block ×15, first 2 shown]
	v_fma_f64 v[172:173], v[109:110], s[16:17], -v[176:177]
	v_fma_f64 v[174:175], v[115:116], s[16:17], v[178:179]
	v_fma_f64 v[176:177], v[109:110], s[16:17], v[176:177]
	v_fma_f64 v[178:179], v[115:116], s[16:17], -v[178:179]
	v_fma_f64 v[85:86], v[109:110], s[2:3], v[184:185]
	v_fma_f64 v[91:92], v[115:116], s[2:3], -v[186:187]
	v_fma_f64 v[95:96], v[109:110], s[18:19], -v[188:189]
	v_fma_f64 v[131:132], v[115:116], s[18:19], v[190:191]
	v_fma_f64 v[135:136], v[109:110], s[18:19], v[188:189]
	v_fma_f64 v[147:148], v[115:116], s[18:19], -v[190:191]
	v_fma_f64 v[190:191], v[109:110], s[12:13], -v[111:112]
	v_add_f64_e32 v[89:90], v[101:102], v[89:90]
	v_add_f64_e32 v[101:102], v[240:241], v[133:134]
	;; [unrolled: 1-line block ×3, first 2 shown]
	v_fma_f64 v[151:152], v[117:118], s[18:19], -v[192:193]
	v_fma_f64 v[188:189], v[119:120], s[18:19], -v[194:195]
	v_fma_f64 v[137:138], v[117:118], s[16:17], v[200:201]
	v_add_f64_e32 v[60:61], v[64:65], v[60:61]
	v_add_f64_e32 v[62:63], v[66:67], v[62:63]
	v_fma_f64 v[64:65], v[109:110], s[2:3], -v[184:185]
	v_fma_f64 v[66:67], v[115:116], s[2:3], v[186:187]
	v_fma_f64 v[109:110], v[109:110], s[12:13], v[111:112]
	;; [unrolled: 1-line block ×3, first 2 shown]
	v_fma_f64 v[113:114], v[115:116], s[12:13], -v[113:114]
	v_add_f64_e32 v[83:84], v[97:98], v[83:84]
	v_add_f64_e32 v[97:98], v[155:156], v[107:108]
	;; [unrolled: 1-line block ×17, first 2 shown]
	v_fma_f64 v[103:104], v[117:118], s[16:17], -v[200:201]
	v_fma_f64 v[121:122], v[119:120], s[16:17], v[202:203]
	v_fma_f64 v[153:154], v[117:118], s[12:13], -v[123:124]
	v_fma_f64 v[155:156], v[119:120], s[12:13], v[81:82]
	v_fma_f64 v[184:185], v[119:120], s[18:19], v[194:195]
	;; [unrolled: 1-line block ×4, first 2 shown]
	v_fma_f64 v[99:100], v[119:120], s[2:3], -v[198:199]
	v_add_f64_e32 v[85:86], v[85:86], v[89:90]
	v_add_f64_e32 v[89:90], v[95:96], v[101:102]
	v_fma_f64 v[139:140], v[119:120], s[16:17], -v[202:203]
	v_fma_f64 v[141:142], v[117:118], s[14:15], -v[204:205]
	v_fma_f64 v[143:144], v[119:120], s[14:15], v[206:207]
	v_fma_f64 v[145:146], v[117:118], s[14:15], v[204:205]
	v_add_f64_e32 v[56:57], v[60:61], v[56:57]
	v_add_f64_e32 v[58:59], v[62:63], v[58:59]
	v_fma_f64 v[60:61], v[117:118], s[2:3], -v[196:197]
	v_fma_f64 v[62:63], v[119:120], s[2:3], v[198:199]
	v_fma_f64 v[149:150], v[119:120], s[14:15], -v[206:207]
	v_fma_f64 v[117:118], v[117:118], s[12:13], v[123:124]
	v_fma_f64 v[119:120], v[119:120], s[12:13], -v[81:82]
	v_add_f64_e32 v[81:82], v[172:173], v[83:84]
	v_add_f64_e32 v[97:98], v[178:179], v[97:98]
	;; [unrolled: 1-line block ×18, first 2 shown]
	v_lshl_add_u32 v159, v0, 4, v1
	v_add_f64_e32 v[127:128], v[56:57], v[52:53]
	v_add_f64_e32 v[129:130], v[58:59], v[54:55]
	;; [unrolled: 1-line block ×22, first 2 shown]
	v_add_co_u32 v124, s2, s8, v158
	s_wait_alu 0xf1ff
	v_add_co_ci_u32_e64 v125, null, s9, 0, s2
                                        ; implicit-def: $vgpr120_vgpr121
	v_add_f64_e32 v[44:45], v[127:128], v[44:45]
	v_add_f64_e32 v[46:47], v[129:130], v[46:47]
	ds_store_b128 v159, v[52:55] offset:32
	ds_store_b128 v159, v[56:59] offset:48
	;; [unrolled: 1-line block ×9, first 2 shown]
	ds_store_b128 v159, v[44:47]
	ds_store_b128 v159, v[48:51] offset:16
	global_wb scope:SCOPE_SE
	s_wait_dscnt 0x0
	s_barrier_signal -1
	s_barrier_wait -1
	global_inv scope:SCOPE_SE
	ds_load_b128 v[84:87], v166
	ds_load_b128 v[80:83], v166 offset:528
	ds_load_b128 v[104:107], v166 offset:3872
	;; [unrolled: 1-line block ×8, first 2 shown]
	s_and_saveexec_b32 s2, vcc_lo
	s_cbranch_execz .LBB0_3
; %bb.2:
	ds_load_b128 v[76:79], v166 offset:1584
	ds_load_b128 v[92:95], v166 offset:3520
	;; [unrolled: 1-line block ×3, first 2 shown]
.LBB0_3:
	s_wait_alu 0xfffe
	s_or_b32 exec_lo, exec_lo, s2
	v_and_b32_e32 v0, 0xff, v165
	v_add_nc_u16 v1, v165, 33
	v_add_nc_u16 v2, v165, 0x42
	;; [unrolled: 1-line block ×3, first 2 shown]
	s_mov_b32 s2, 0xe8584caa
	v_mul_lo_u16 v0, 0x75, v0
	v_and_b32_e32 v3, 0xff, v1
	v_and_b32_e32 v5, 0xff, v2
	v_and_b32_e32 v7, 0xff, v4
	s_mov_b32 s3, 0x3febb67a
	v_lshrrev_b16 v0, 8, v0
	v_mul_lo_u16 v3, 0x75, v3
	v_mul_lo_u16 v5, 0x75, v5
	;; [unrolled: 1-line block ×3, first 2 shown]
	s_mov_b32 s13, 0xbfebb67a
	v_sub_nc_u16 v6, v165, v0
	v_lshrrev_b16 v3, 8, v3
	v_lshrrev_b16 v5, 8, v5
	;; [unrolled: 1-line block ×3, first 2 shown]
	s_wait_alu 0xfffe
	s_mov_b32 s12, s2
	v_lshrrev_b16 v6, 1, v6
	v_sub_nc_u16 v8, v1, v3
	v_sub_nc_u16 v9, v2, v5
	s_delay_alu instid0(VALU_DEP_3) | instskip(NEXT) | instid1(VALU_DEP_3)
	v_and_b32_e32 v6, 0x7f, v6
	v_lshrrev_b16 v8, 1, v8
	s_delay_alu instid0(VALU_DEP_3) | instskip(NEXT) | instid1(VALU_DEP_3)
	v_lshrrev_b16 v9, 1, v9
	v_add_nc_u16 v0, v6, v0
	v_sub_nc_u16 v6, v4, v7
	s_delay_alu instid0(VALU_DEP_4) | instskip(NEXT) | instid1(VALU_DEP_4)
	v_and_b32_e32 v8, 0x7f, v8
	v_and_b32_e32 v9, 0x7f, v9
	s_delay_alu instid0(VALU_DEP_4) | instskip(NEXT) | instid1(VALU_DEP_4)
	v_lshrrev_b16 v0, 3, v0
	v_lshrrev_b16 v6, 1, v6
	s_delay_alu instid0(VALU_DEP_4) | instskip(NEXT) | instid1(VALU_DEP_4)
	v_add_nc_u16 v3, v8, v3
	v_add_nc_u16 v5, v9, v5
	s_delay_alu instid0(VALU_DEP_4) | instskip(NEXT) | instid1(VALU_DEP_4)
	v_mul_lo_u16 v8, v0, 11
	v_and_b32_e32 v6, 0x7f, v6
	s_delay_alu instid0(VALU_DEP_4) | instskip(NEXT) | instid1(VALU_DEP_4)
	v_lshrrev_b16 v3, 3, v3
	v_lshrrev_b16 v5, 3, v5
	s_delay_alu instid0(VALU_DEP_4) | instskip(NEXT) | instid1(VALU_DEP_4)
	v_sub_nc_u16 v8, v165, v8
	v_add_nc_u16 v6, v6, v7
	s_delay_alu instid0(VALU_DEP_4) | instskip(SKIP_1) | instid1(VALU_DEP_4)
	v_mul_lo_u16 v7, v3, 11
	v_and_b32_e32 v3, 0xffff, v3
	v_lshlrev_b16 v9, 1, v8
	s_delay_alu instid0(VALU_DEP_4)
	v_lshrrev_b16 v10, 3, v6
	v_mul_lo_u16 v6, v5, 11
	v_sub_nc_u16 v1, v1, v7
	v_mad_u16 v0, v0, 33, v8
	v_and_b32_e32 v7, 0xfe, v9
	v_mul_lo_u16 v9, v10, 11
	v_sub_nc_u16 v2, v2, v6
	v_and_b32_e32 v1, 0xff, v1
	scratch_store_b32 off, v10, off offset:196 ; 4-byte Folded Spill
	v_lshlrev_b32_e32 v6, 4, v7
	v_sub_nc_u16 v4, v4, v9
	v_and_b32_e32 v2, 0xff, v2
	v_lshlrev_b32_e32 v7, 5, v1
	v_and_b32_e32 v0, 0xff, v0
	s_clause 0x1
	global_load_b128 v[64:67], v6, s[10:11]
	global_load_b128 v[60:63], v6, s[10:11] offset:16
	v_and_b32_e32 v6, 0xff, v4
	v_lshlrev_b32_e32 v4, 5, v2
	s_clause 0x1
	global_load_b128 v[72:75], v7, s[10:11]
	global_load_b128 v[68:71], v7, s[10:11] offset:16
	v_mul_u32_u24_e32 v3, 33, v3
	scratch_store_b32 off, v6, off offset:200 ; 4-byte Folded Spill
	v_lshlrev_b32_e32 v6, 5, v6
	s_clause 0x3
	global_load_b128 v[56:59], v4, s[10:11]
	global_load_b128 v[52:55], v4, s[10:11] offset:16
	global_load_b128 v[13:16], v6, s[10:11]
	global_load_b128 v[9:12], v6, s[10:11] offset:16
	v_and_b32_e32 v4, 0xffff, v5
	scratch_load_b32 v5, off, off           ; 4-byte Folded Reload
	v_mul_u32_u24_e32 v4, 33, v4
	s_wait_loadcnt_dscnt 0x804
	v_mul_f64_e32 v[126:127], v[118:119], v[66:67]
	v_mul_f64_e32 v[128:129], v[116:117], v[66:67]
	s_wait_loadcnt 0x7
	v_mul_f64_e32 v[130:131], v[106:107], v[62:63]
	v_mul_f64_e32 v[132:133], v[104:105], v[62:63]
	s_wait_loadcnt 0x5
	v_mul_f64_e32 v[138:139], v[98:99], v[70:71]
	v_mul_f64_e32 v[140:141], v[96:97], v[70:71]
	s_wait_dscnt 0x2
	v_mul_f64_e32 v[134:135], v[114:115], v[74:75]
	v_mul_f64_e32 v[136:137], v[112:113], v[74:75]
	s_wait_loadcnt_dscnt 0x401
	v_mul_f64_e32 v[142:143], v[110:111], v[58:59]
	v_mul_f64_e32 v[144:145], v[108:109], v[58:59]
	s_wait_loadcnt_dscnt 0x300
	v_mul_f64_e32 v[146:147], v[102:103], v[54:55]
	v_mul_f64_e32 v[148:149], v[100:101], v[54:55]
	s_wait_loadcnt 0x2
	v_mul_f64_e32 v[150:151], v[94:95], v[15:16]
	v_mul_f64_e32 v[152:153], v[92:93], v[15:16]
	s_wait_loadcnt 0x1
	v_mul_f64_e32 v[154:155], v[122:123], v[11:12]
	v_mul_f64_e32 v[156:157], v[120:121], v[11:12]
	scratch_store_b128 off, v[9:12], off offset:204 ; 16-byte Folded Spill
	v_fma_f64 v[116:117], v[116:117], v[64:65], -v[126:127]
	v_fma_f64 v[118:119], v[118:119], v[64:65], v[128:129]
	v_fma_f64 v[104:105], v[104:105], v[60:61], -v[130:131]
	v_fma_f64 v[106:107], v[106:107], v[60:61], v[132:133]
	;; [unrolled: 2-line block ×8, first 2 shown]
	v_add_f64_e32 v[142:143], v[84:85], v[116:117]
	v_add_f64_e32 v[100:101], v[116:117], v[104:105]
	v_add_f64_e32 v[102:103], v[118:119], v[106:107]
	v_add_f64_e64 v[144:145], v[118:119], -v[106:107]
	v_add_f64_e32 v[118:119], v[86:87], v[118:119]
	v_add_f64_e32 v[120:121], v[112:113], v[126:127]
	;; [unrolled: 1-line block ×7, first 2 shown]
	v_add_f64_e64 v[146:147], v[116:117], -v[104:105]
	v_add_f64_e32 v[116:117], v[80:81], v[112:113]
	v_add_f64_e32 v[138:139], v[96:97], v[92:93]
	;; [unrolled: 1-line block ×4, first 2 shown]
	v_add_f64_e64 v[156:157], v[114:115], -v[128:129]
	v_add_f64_e64 v[162:163], v[112:113], -v[126:127]
	;; [unrolled: 1-line block ×4, first 2 shown]
	v_fma_f64 v[154:155], v[100:101], -0.5, v[84:85]
	v_fma_f64 v[160:161], v[102:103], -0.5, v[86:87]
	v_add_f64_e64 v[86:87], v[98:99], -v[94:95]
	v_add_f64_e32 v[100:101], v[142:143], v[104:105]
	v_fma_f64 v[80:81], v[120:121], -0.5, v[80:81]
	v_fma_f64 v[82:83], v[122:123], -0.5, v[82:83]
	v_add_f64_e32 v[102:103], v[118:119], v[106:107]
	v_add_f64_e32 v[108:109], v[150:151], v[130:131]
	v_fma_f64 v[134:135], v[134:135], -0.5, v[88:89]
	v_fma_f64 v[136:137], v[136:137], -0.5, v[90:91]
	v_add_f64_e64 v[90:91], v[96:97], -v[92:93]
	v_add_f64_e32 v[104:105], v[116:117], v[126:127]
	v_fma_f64 v[84:85], v[138:139], -0.5, v[76:77]
	v_fma_f64 v[88:89], v[140:141], -0.5, v[78:79]
	v_add_f64_e32 v[106:107], v[148:149], v[128:129]
	v_add_f64_e32 v[110:111], v[152:153], v[132:133]
	v_fma_f64 v[112:113], v[144:145], s[2:3], v[154:155]
	s_wait_alu 0xfffe
	v_fma_f64 v[114:115], v[146:147], s[12:13], v[160:161]
	v_fma_f64 v[116:117], v[144:145], s[12:13], v[154:155]
	;; [unrolled: 1-line block ×13, first 2 shown]
	s_wait_loadcnt 0x0
	v_lshl_add_u32 v172, v0, 4, v5
	v_add_nc_u32_e32 v0, v3, v1
	v_add_nc_u32_e32 v1, v4, v2
	scratch_store_b128 off, v[13:16], off offset:220 ; 16-byte Folded Spill
	v_lshl_add_u32 v167, v0, 4, v5
	v_lshl_add_u32 v255, v1, 4, v5
	scratch_store_b128 off, v[9:12], off offset:4 ; 16-byte Folded Spill
	global_wb scope:SCOPE_SE
	s_wait_storecnt 0x0
	s_barrier_signal -1
	s_barrier_wait -1
	global_inv scope:SCOPE_SE
	ds_store_b128 v172, v[100:103]
	ds_store_b128 v172, v[112:115] offset:176
	ds_store_b128 v172, v[116:119] offset:352
	ds_store_b128 v167, v[104:107]
	ds_store_b128 v167, v[120:123] offset:176
	ds_store_b128 v167, v[126:129] offset:352
	;; [unrolled: 3-line block ×3, first 2 shown]
	s_and_saveexec_b32 s12, vcc_lo
	s_cbranch_execz .LBB0_5
; %bb.4:
	s_clause 0x1
	scratch_load_b32 v0, off, off offset:196
	scratch_load_b32 v1, off, off offset:200
	v_mul_f64_e32 v[90:91], s[2:3], v[90:91]
	v_add_f64_e32 v[98:99], v[78:79], v[98:99]
	v_add_f64_e32 v[76:77], v[76:77], v[96:97]
	v_mul_f64_e32 v[96:97], s[2:3], v[86:87]
	s_delay_alu instid0(VALU_DEP_4) | instskip(NEXT) | instid1(VALU_DEP_4)
	v_add_f64_e64 v[78:79], v[88:89], -v[90:91]
	v_add_f64_e32 v[88:89], v[98:99], v[94:95]
	s_delay_alu instid0(VALU_DEP_4) | instskip(NEXT) | instid1(VALU_DEP_4)
	v_add_f64_e32 v[86:87], v[76:77], v[92:93]
	v_add_f64_e32 v[76:77], v[96:97], v[84:85]
	s_wait_loadcnt 0x1
	v_and_b32_e32 v0, 0xffff, v0
	s_delay_alu instid0(VALU_DEP_1) | instskip(SKIP_1) | instid1(VALU_DEP_1)
	v_mul_u32_u24_e32 v0, 33, v0
	s_wait_loadcnt 0x0
	v_add_nc_u32_e32 v0, v0, v1
	scratch_load_b32 v1, off, off           ; 4-byte Folded Reload
	s_wait_loadcnt 0x0
	v_lshl_add_u32 v0, v0, 4, v1
	ds_store_b128 v0, v[86:89]
	ds_store_b128 v0, v[76:79] offset:176
	scratch_load_b128 v[1:4], off, off offset:4 ; 16-byte Folded Reload
	s_wait_loadcnt 0x0
	ds_store_b128 v0, v[1:4] offset:352
.LBB0_5:
	s_wait_alu 0xfffe
	s_or_b32 exec_lo, exec_lo, s12
	v_mad_co_u64_u32 v[112:113], null, 0xa0, v165, s[10:11]
	global_wb scope:SCOPE_SE
	s_wait_dscnt 0x0
	s_barrier_signal -1
	s_barrier_wait -1
	global_inv scope:SCOPE_SE
	s_mov_b32 s26, 0xf8bb580b
	s_mov_b32 s14, 0x8eee2c13
	s_clause 0x3
	global_load_b128 v[84:87], v[112:113], off offset:352
	global_load_b128 v[76:79], v[112:113], off offset:496
	;; [unrolled: 1-line block ×4, first 2 shown]
	ds_load_b128 v[96:99], v166 offset:528
	ds_load_b128 v[100:103], v166 offset:5280
	ds_load_b128 v[160:163], v166
	s_mov_b32 s16, 0x43842ef
	s_mov_b32 s10, 0xbb3a28a1
	;; [unrolled: 1-line block ×19, first 2 shown]
	s_wait_alu 0xfffe
	s_mov_b32 s28, s2
	s_mov_b32 s31, 0x3fefac9e
	;; [unrolled: 1-line block ×7, first 2 shown]
	s_add_nc_u64 s[8:9], s[8:9], 0x16b0
	s_wait_loadcnt_dscnt 0x302
	v_mul_f64_e32 v[104:105], v[98:99], v[86:87]
	v_mul_f64_e32 v[106:107], v[96:97], v[86:87]
	s_wait_loadcnt_dscnt 0x201
	v_mul_f64_e32 v[110:111], v[102:103], v[78:79]
	v_mul_f64_e32 v[108:109], v[100:101], v[78:79]
	s_delay_alu instid0(VALU_DEP_4) | instskip(NEXT) | instid1(VALU_DEP_4)
	v_fma_f64 v[177:178], v[96:97], v[84:85], -v[104:105]
	v_fma_f64 v[179:180], v[98:99], v[84:85], v[106:107]
	ds_load_b128 v[96:99], v166 offset:1056
	ds_load_b128 v[104:107], v166 offset:1584
	v_fma_f64 v[122:123], v[100:101], v[76:77], -v[110:111]
	v_fma_f64 v[120:121], v[102:103], v[76:77], v[108:109]
	s_wait_loadcnt_dscnt 0x101
	v_mul_f64_e32 v[100:101], v[98:99], v[90:91]
	v_add_f64_e32 v[219:220], v[160:161], v[177:178]
	v_add_f64_e32 v[221:222], v[162:163], v[179:180]
	;; [unrolled: 1-line block ×4, first 2 shown]
	v_fma_f64 v[130:131], v[96:97], v[88:89], -v[100:101]
	v_mul_f64_e32 v[96:97], v[96:97], v[90:91]
	s_delay_alu instid0(VALU_DEP_1) | instskip(SKIP_4) | instid1(VALU_DEP_1)
	v_fma_f64 v[132:133], v[98:99], v[88:89], v[96:97]
	ds_load_b128 v[96:99], v166 offset:4752
	ds_load_b128 v[114:117], v166 offset:4224
	s_wait_loadcnt_dscnt 0x1
	v_mul_f64_e32 v[100:101], v[96:97], v[94:95]
	v_fma_f64 v[126:127], v[98:99], v[92:93], v[100:101]
	v_mul_f64_e32 v[98:99], v[98:99], v[94:95]
	s_delay_alu instid0(VALU_DEP_2) | instskip(NEXT) | instid1(VALU_DEP_2)
	v_add_f64_e32 v[227:228], v[132:133], v[126:127]
	v_fma_f64 v[128:129], v[96:97], v[92:93], -v[98:99]
	s_clause 0x1
	global_load_b128 v[100:103], v[112:113], off offset:384
	global_load_b128 v[96:99], v[112:113], off offset:400
	v_add_f64_e64 v[225:226], v[130:131], -v[128:129]
	s_delay_alu instid0(VALU_DEP_1) | instskip(SKIP_4) | instid1(VALU_DEP_3)
	v_mul_f64_e32 v[229:230], s[14:15], v[225:226]
	v_mul_f64_e32 v[12:13], s[10:11], v[225:226]
	s_wait_alu 0xfffe
	v_mul_f64_e32 v[28:29], s[28:29], v[225:226]
	v_mul_f64_e32 v[80:81], s[30:31], v[225:226]
	v_fma_f64 v[14:15], v[227:228], s[18:19], v[12:13]
	s_delay_alu instid0(VALU_DEP_3) | instskip(NEXT) | instid1(VALU_DEP_3)
	v_fma_f64 v[30:31], v[227:228], s[12:13], v[28:29]
	v_fma_f64 v[82:83], v[227:228], s[22:23], v[80:81]
	s_wait_loadcnt 0x1
	v_mul_f64_e32 v[108:109], v[106:107], v[102:103]
	s_delay_alu instid0(VALU_DEP_1) | instskip(SKIP_1) | instid1(VALU_DEP_1)
	v_fma_f64 v[138:139], v[104:105], v[100:101], -v[108:109]
	v_mul_f64_e32 v[104:105], v[104:105], v[102:103]
	v_fma_f64 v[140:141], v[106:107], v[100:101], v[104:105]
	s_clause 0x1
	global_load_b128 v[108:111], v[112:113], off offset:464
	global_load_b128 v[104:107], v[112:113], off offset:448
	s_wait_loadcnt_dscnt 0x100
	v_mul_f64_e32 v[118:119], v[114:115], v[110:111]
	s_delay_alu instid0(VALU_DEP_1) | instskip(SKIP_1) | instid1(VALU_DEP_2)
	v_fma_f64 v[134:135], v[116:117], v[108:109], v[118:119]
	v_mul_f64_e32 v[116:117], v[116:117], v[110:111]
	v_add_f64_e64 v[231:232], v[140:141], -v[134:135]
	s_delay_alu instid0(VALU_DEP_2)
	v_fma_f64 v[136:137], v[114:115], v[108:109], -v[116:117]
	ds_load_b128 v[114:117], v166 offset:2112
	ds_load_b128 v[152:155], v166 offset:2640
	v_add_f64_e32 v[239:240], v[140:141], v[134:135]
	s_wait_dscnt 0x1
	v_mul_f64_e32 v[118:119], v[116:117], v[98:99]
	v_mul_f64_e32 v[235:236], s[16:17], v[231:232]
	v_add_f64_e32 v[233:234], v[138:139], v[136:137]
	v_add_f64_e64 v[237:238], v[138:139], -v[136:137]
	v_mul_f64_e32 v[16:17], s[28:29], v[231:232]
	v_mul_f64_e32 v[32:33], s[36:37], v[231:232]
	v_fma_f64 v[142:143], v[114:115], v[96:97], -v[118:119]
	v_mul_f64_e32 v[114:115], v[114:115], v[98:99]
	v_mul_f64_e32 v[241:242], s[16:17], v[237:238]
	v_fma_f64 v[18:19], v[233:234], s[12:13], -v[16:17]
	v_fma_f64 v[34:35], v[233:234], s[20:21], -v[32:33]
	v_mul_f64_e32 v[44:45], s[26:27], v[237:238]
	v_fma_f64 v[146:147], v[116:117], v[96:97], v[114:115]
	ds_load_b128 v[114:117], v166 offset:3696
	ds_load_b128 v[173:176], v166 offset:3168
	s_wait_loadcnt_dscnt 0x1
	v_mul_f64_e32 v[118:119], v[116:117], v[106:107]
	v_fma_f64 v[46:47], v[239:240], s[24:25], v[44:45]
	v_fma_f64 v[44:45], v[239:240], s[24:25], -v[44:45]
	s_delay_alu instid0(VALU_DEP_3) | instskip(SKIP_1) | instid1(VALU_DEP_2)
	v_fma_f64 v[144:145], v[114:115], v[104:105], -v[118:119]
	v_mul_f64_e32 v[114:115], v[114:115], v[106:107]
	v_add_f64_e32 v[245:246], v[142:143], v[144:145]
	s_delay_alu instid0(VALU_DEP_2)
	v_fma_f64 v[148:149], v[116:117], v[104:105], v[114:115]
	s_clause 0x1
	global_load_b128 v[116:119], v[112:113], off offset:416
	global_load_b128 v[112:115], v[112:113], off offset:432
	v_add_f64_e64 v[249:250], v[142:143], -v[144:145]
	v_add_f64_e64 v[243:244], v[146:147], -v[148:149]
	v_add_f64_e32 v[251:252], v[146:147], v[148:149]
	s_delay_alu instid0(VALU_DEP_3) | instskip(SKIP_1) | instid1(VALU_DEP_4)
	v_mul_f64_e32 v[253:254], s[10:11], v[249:250]
	v_mul_f64_e32 v[48:49], s[2:3], v[249:250]
	;; [unrolled: 1-line block ×5, first 2 shown]
	s_delay_alu instid0(VALU_DEP_4) | instskip(NEXT) | instid1(VALU_DEP_3)
	v_fma_f64 v[50:51], v[251:252], s[12:13], v[48:49]
	v_fma_f64 v[22:23], v[245:246], s[22:23], -v[20:21]
	s_delay_alu instid0(VALU_DEP_3) | instskip(SKIP_4) | instid1(VALU_DEP_2)
	v_fma_f64 v[38:39], v[245:246], s[24:25], -v[36:37]
	s_wait_loadcnt 0x1
	v_mul_f64_e32 v[150:151], v[154:155], v[118:119]
	s_wait_loadcnt_dscnt 0x0
	v_mul_f64_e32 v[156:157], v[173:174], v[114:115]
	v_fma_f64 v[150:151], v[152:153], v[116:117], -v[150:151]
	v_mul_f64_e32 v[152:153], v[152:153], v[118:119]
	s_delay_alu instid0(VALU_DEP_3) | instskip(NEXT) | instid1(VALU_DEP_2)
	v_fma_f64 v[156:157], v[175:176], v[112:113], v[156:157]
	v_fma_f64 v[152:153], v[154:155], v[116:117], v[152:153]
	v_mul_f64_e32 v[154:155], v[175:176], v[114:115]
	s_delay_alu instid0(VALU_DEP_2) | instskip(NEXT) | instid1(VALU_DEP_2)
	v_add_f64_e64 v[168:169], v[152:153], -v[156:157]
	v_fma_f64 v[154:155], v[173:174], v[112:113], -v[154:155]
	v_add_f64_e64 v[173:174], v[179:180], -v[120:121]
	v_add_f64_e32 v[4:5], v[152:153], v[156:157]
	s_delay_alu instid0(VALU_DEP_4) | instskip(NEXT) | instid1(VALU_DEP_4)
	v_mul_f64_e32 v[0:1], s[2:3], v[168:169]
	v_add_f64_e32 v[170:171], v[150:151], v[154:155]
	s_delay_alu instid0(VALU_DEP_4)
	v_mul_f64_e32 v[175:176], s[26:27], v[173:174]
	v_mul_f64_e32 v[181:182], s[14:15], v[173:174]
	;; [unrolled: 1-line block ×7, first 2 shown]
	v_fma_f64 v[2:3], v[170:171], s[12:13], v[0:1]
	v_fma_f64 v[189:190], v[187:188], s[24:25], -v[175:176]
	v_fma_f64 v[175:176], v[187:188], s[24:25], v[175:176]
	v_fma_f64 v[191:192], v[187:188], s[20:21], -v[181:182]
	;; [unrolled: 2-line block ×5, first 2 shown]
	v_fma_f64 v[173:174], v[187:188], s[12:13], v[173:174]
	v_add_f64_e64 v[187:188], v[177:178], -v[122:123]
	v_fma_f64 v[26:27], v[170:171], s[24:25], -v[24:25]
	v_fma_f64 v[42:43], v[170:171], s[18:19], -v[40:41]
	v_fma_f64 v[0:1], v[170:171], s[12:13], -v[0:1]
	v_add_f64_e32 v[175:176], v[160:161], v[175:176]
	v_add_f64_e32 v[179:180], v[160:161], v[191:192]
	v_mul_f64_e32 v[199:200], s[26:27], v[187:188]
	v_mul_f64_e32 v[201:202], s[14:15], v[187:188]
	;; [unrolled: 1-line block ×5, first 2 shown]
	v_fma_f64 v[209:210], v[207:208], s[24:25], -v[199:200]
	v_fma_f64 v[211:212], v[207:208], s[20:21], v[201:202]
	v_fma_f64 v[199:200], v[207:208], s[24:25], v[199:200]
	;; [unrolled: 1-line block ×4, first 2 shown]
	v_fma_f64 v[187:188], v[207:208], s[12:13], -v[187:188]
	v_fma_f64 v[201:202], v[207:208], s[20:21], -v[201:202]
	v_fma_f64 v[213:214], v[207:208], s[22:23], v[203:204]
	v_fma_f64 v[203:204], v[207:208], s[22:23], -v[203:204]
	v_fma_f64 v[205:206], v[207:208], s[18:19], -v[205:206]
	v_add_f64_e32 v[207:208], v[160:161], v[189:190]
	v_add_f64_e32 v[177:178], v[162:163], v[209:210]
	;; [unrolled: 1-line block ×7, first 2 shown]
	v_add_f64_e64 v[187:188], v[132:133], -v[126:127]
	v_add_f64_e32 v[209:210], v[162:163], v[199:200]
	v_add_f64_e32 v[199:200], v[160:161], v[183:184]
	;; [unrolled: 1-line block ×12, first 2 shown]
	v_fma_f64 v[162:163], v[227:228], s[20:21], -v[229:230]
	v_fma_f64 v[173:174], v[233:234], s[22:23], v[235:236]
	v_add_f64_e32 v[14:15], v[14:15], v[189:190]
	v_mul_f64_e32 v[189:190], s[34:35], v[225:226]
	v_add_f64_e32 v[82:83], v[82:83], v[193:194]
	v_mul_f64_e32 v[193:194], s[26:27], v[231:232]
	v_mul_f64_e32 v[223:224], s[14:15], v[187:188]
	;; [unrolled: 1-line block ×3, first 2 shown]
	v_add_f64_e32 v[30:31], v[30:31], v[191:192]
	v_mul_f64_e32 v[191:192], s[10:11], v[231:232]
	v_add_f64_e32 v[162:163], v[162:163], v[177:178]
	v_add_f64_e32 v[46:47], v[46:47], v[82:83]
	v_mul_f64_e32 v[82:83], s[2:3], v[243:244]
	v_fma_f64 v[160:161], v[217:218], s[20:21], v[223:224]
	v_fma_f64 v[10:11], v[217:218], s[18:19], -v[8:9]
	s_delay_alu instid0(VALU_DEP_4) | instskip(SKIP_1) | instid1(VALU_DEP_4)
	v_add_f64_e32 v[46:47], v[50:51], v[46:47]
	v_mul_f64_e32 v[50:51], s[36:37], v[168:169]
	v_add_f64_e32 v[160:161], v[160:161], v[175:176]
	s_delay_alu instid0(VALU_DEP_4) | instskip(SKIP_1) | instid1(VALU_DEP_3)
	v_add_f64_e32 v[10:11], v[10:11], v[179:180]
	v_mul_f64_e32 v[168:169], s[16:17], v[168:169]
	v_add_f64_e32 v[160:161], v[173:174], v[160:161]
	v_fma_f64 v[173:174], v[239:240], s[22:23], -v[241:242]
	s_delay_alu instid0(VALU_DEP_4) | instskip(SKIP_1) | instid1(VALU_DEP_3)
	v_add_f64_e32 v[10:11], v[18:19], v[10:11]
	v_mul_f64_e32 v[18:19], s[28:29], v[237:238]
	v_add_f64_e32 v[162:163], v[173:174], v[162:163]
	v_fma_f64 v[173:174], v[245:246], s[18:19], v[247:248]
	s_delay_alu instid0(VALU_DEP_4) | instskip(SKIP_1) | instid1(VALU_DEP_3)
	v_add_f64_e32 v[10:11], v[22:23], v[10:11]
	v_mul_f64_e32 v[22:23], s[30:31], v[249:250]
	v_add_f64_e32 v[160:161], v[173:174], v[160:161]
	v_fma_f64 v[173:174], v[251:252], s[18:19], -v[253:254]
	s_delay_alu instid0(VALU_DEP_2) | instskip(SKIP_1) | instid1(VALU_DEP_3)
	v_add_f64_e32 v[160:161], v[2:3], v[160:161]
	v_add_f64_e64 v[2:3], v[150:151], -v[154:155]
	v_add_f64_e32 v[162:163], v[173:174], v[162:163]
	s_delay_alu instid0(VALU_DEP_2) | instskip(NEXT) | instid1(VALU_DEP_1)
	v_mul_f64_e32 v[6:7], s[2:3], v[2:3]
	v_fma_f64 v[173:174], v[4:5], s[12:13], -v[6:7]
	s_delay_alu instid0(VALU_DEP_1) | instskip(SKIP_1) | instid1(VALU_DEP_1)
	v_add_f64_e32 v[162:163], v[173:174], v[162:163]
	v_fma_f64 v[173:174], v[239:240], s[12:13], v[18:19]
	v_add_f64_e32 v[14:15], v[173:174], v[14:15]
	v_fma_f64 v[173:174], v[251:252], s[22:23], v[22:23]
	s_delay_alu instid0(VALU_DEP_1) | instskip(SKIP_2) | instid1(VALU_DEP_1)
	v_add_f64_e32 v[14:15], v[173:174], v[14:15]
	v_add_f64_e32 v[173:174], v[26:27], v[10:11]
	v_mul_f64_e32 v[10:11], s[34:35], v[2:3]
	v_fma_f64 v[26:27], v[4:5], s[24:25], v[10:11]
	v_fma_f64 v[10:11], v[4:5], s[24:25], -v[10:11]
	s_delay_alu instid0(VALU_DEP_2) | instskip(SKIP_1) | instid1(VALU_DEP_1)
	v_add_f64_e32 v[175:176], v[26:27], v[14:15]
	v_mul_f64_e32 v[14:15], s[28:29], v[187:188]
	v_fma_f64 v[26:27], v[217:218], s[12:13], -v[14:15]
	s_delay_alu instid0(VALU_DEP_1) | instskip(SKIP_1) | instid1(VALU_DEP_2)
	v_add_f64_e32 v[26:27], v[26:27], v[181:182]
	v_fma_f64 v[181:182], v[233:234], s[24:25], -v[193:194]
	v_add_f64_e32 v[26:27], v[34:35], v[26:27]
	v_mul_f64_e32 v[34:35], s[36:37], v[237:238]
	s_delay_alu instid0(VALU_DEP_2) | instskip(NEXT) | instid1(VALU_DEP_2)
	v_add_f64_e32 v[26:27], v[38:39], v[26:27]
	v_fma_f64 v[177:178], v[239:240], s[20:21], v[34:35]
	v_mul_f64_e32 v[38:39], s[26:27], v[249:250]
	s_delay_alu instid0(VALU_DEP_2) | instskip(NEXT) | instid1(VALU_DEP_2)
	v_add_f64_e32 v[30:31], v[177:178], v[30:31]
	v_fma_f64 v[177:178], v[251:252], s[24:25], v[38:39]
	s_delay_alu instid0(VALU_DEP_1) | instskip(SKIP_2) | instid1(VALU_DEP_1)
	v_add_f64_e32 v[30:31], v[177:178], v[30:31]
	v_add_f64_e32 v[177:178], v[42:43], v[26:27]
	v_mul_f64_e32 v[26:27], s[10:11], v[2:3]
	v_fma_f64 v[42:43], v[4:5], s[18:19], v[26:27]
	v_fma_f64 v[26:27], v[4:5], s[18:19], -v[26:27]
	s_delay_alu instid0(VALU_DEP_2) | instskip(SKIP_1) | instid1(VALU_DEP_1)
	v_add_f64_e32 v[179:180], v[42:43], v[30:31]
	v_mul_f64_e32 v[30:31], s[30:31], v[187:188]
	v_fma_f64 v[42:43], v[217:218], s[22:23], -v[30:31]
	s_delay_alu instid0(VALU_DEP_1) | instskip(NEXT) | instid1(VALU_DEP_1)
	v_add_f64_e32 v[42:43], v[42:43], v[183:184]
	v_add_f64_e32 v[42:43], v[181:182], v[42:43]
	v_fma_f64 v[181:182], v[245:246], s[12:13], -v[82:83]
	s_delay_alu instid0(VALU_DEP_1) | instskip(SKIP_1) | instid1(VALU_DEP_1)
	v_add_f64_e32 v[42:43], v[181:182], v[42:43]
	v_fma_f64 v[181:182], v[170:171], s[20:21], -v[50:51]
	v_add_f64_e32 v[181:182], v[181:182], v[42:43]
	v_mul_f64_e32 v[42:43], s[36:37], v[2:3]
	v_mul_f64_e32 v[2:3], s[16:17], v[2:3]
	s_delay_alu instid0(VALU_DEP_2) | instskip(SKIP_1) | instid1(VALU_DEP_2)
	v_fma_f64 v[183:184], v[4:5], s[20:21], v[42:43]
	v_fma_f64 v[42:43], v[4:5], s[20:21], -v[42:43]
	v_add_f64_e32 v[183:184], v[183:184], v[46:47]
	v_mul_f64_e32 v[46:47], s[34:35], v[187:188]
	s_delay_alu instid0(VALU_DEP_1) | instskip(SKIP_1) | instid1(VALU_DEP_2)
	v_fma_f64 v[187:188], v[217:218], s[24:25], -v[46:47]
	v_fma_f64 v[46:47], v[217:218], s[24:25], v[46:47]
	v_add_f64_e32 v[185:186], v[187:188], v[185:186]
	v_fma_f64 v[187:188], v[227:228], s[24:25], v[189:190]
	s_delay_alu instid0(VALU_DEP_3) | instskip(SKIP_1) | instid1(VALU_DEP_3)
	v_add_f64_e32 v[46:47], v[46:47], v[213:214]
	v_fma_f64 v[189:190], v[227:228], s[24:25], -v[189:190]
	v_add_f64_e32 v[187:188], v[187:188], v[197:198]
	v_fma_f64 v[197:198], v[233:234], s[18:19], -v[191:192]
	v_fma_f64 v[191:192], v[233:234], s[18:19], v[191:192]
	s_delay_alu instid0(VALU_DEP_4) | instskip(NEXT) | instid1(VALU_DEP_3)
	v_add_f64_e32 v[189:190], v[189:190], v[215:216]
	v_add_f64_e32 v[185:186], v[197:198], v[185:186]
	v_mul_f64_e32 v[197:198], s[10:11], v[237:238]
	s_delay_alu instid0(VALU_DEP_4) | instskip(NEXT) | instid1(VALU_DEP_2)
	v_add_f64_e32 v[46:47], v[191:192], v[46:47]
	v_fma_f64 v[225:226], v[239:240], s[18:19], v[197:198]
	v_fma_f64 v[191:192], v[239:240], s[18:19], -v[197:198]
	s_delay_alu instid0(VALU_DEP_2) | instskip(SKIP_1) | instid1(VALU_DEP_3)
	v_add_f64_e32 v[187:188], v[225:226], v[187:188]
	v_mul_f64_e32 v[225:226], s[36:37], v[243:244]
	v_add_f64_e32 v[189:190], v[191:192], v[189:190]
	s_delay_alu instid0(VALU_DEP_2) | instskip(SKIP_1) | instid1(VALU_DEP_2)
	v_fma_f64 v[231:232], v[245:246], s[20:21], -v[225:226]
	v_fma_f64 v[191:192], v[245:246], s[20:21], v[225:226]
	v_add_f64_e32 v[185:186], v[231:232], v[185:186]
	v_mul_f64_e32 v[231:232], s[36:37], v[249:250]
	s_delay_alu instid0(VALU_DEP_3) | instskip(NEXT) | instid1(VALU_DEP_2)
	v_add_f64_e32 v[46:47], v[191:192], v[46:47]
	v_fma_f64 v[237:238], v[251:252], s[20:21], v[231:232]
	v_fma_f64 v[191:192], v[251:252], s[20:21], -v[231:232]
	s_delay_alu instid0(VALU_DEP_2) | instskip(SKIP_1) | instid1(VALU_DEP_3)
	v_add_f64_e32 v[187:188], v[237:238], v[187:188]
	v_fma_f64 v[237:238], v[170:171], s[22:23], -v[168:169]
	v_add_f64_e32 v[191:192], v[191:192], v[189:190]
	v_fma_f64 v[168:169], v[170:171], s[22:23], v[168:169]
	s_delay_alu instid0(VALU_DEP_3) | instskip(SKIP_2) | instid1(VALU_DEP_4)
	v_add_f64_e32 v[185:186], v[237:238], v[185:186]
	v_fma_f64 v[237:238], v[4:5], s[22:23], v[2:3]
	v_fma_f64 v[2:3], v[4:5], s[22:23], -v[2:3]
	v_add_f64_e32 v[189:190], v[168:169], v[46:47]
	v_fma_f64 v[46:47], v[233:234], s[24:25], v[193:194]
	v_fma_f64 v[4:5], v[4:5], s[12:13], v[6:7]
	v_add_f64_e32 v[187:188], v[237:238], v[187:188]
	v_add_f64_e32 v[191:192], v[2:3], v[191:192]
	v_fma_f64 v[2:3], v[217:218], s[22:23], v[30:31]
	v_fma_f64 v[30:31], v[227:228], s[22:23], -v[80:81]
	s_delay_alu instid0(VALU_DEP_2) | instskip(NEXT) | instid1(VALU_DEP_2)
	v_add_f64_e32 v[2:3], v[2:3], v[195:196]
	v_add_f64_e32 v[30:31], v[30:31], v[205:206]
	s_delay_alu instid0(VALU_DEP_2) | instskip(NEXT) | instid1(VALU_DEP_2)
	v_add_f64_e32 v[2:3], v[46:47], v[2:3]
	v_add_f64_e32 v[30:31], v[44:45], v[30:31]
	v_fma_f64 v[44:45], v[245:246], s[12:13], v[82:83]
	s_delay_alu instid0(VALU_DEP_1) | instskip(SKIP_1) | instid1(VALU_DEP_1)
	v_add_f64_e32 v[2:3], v[44:45], v[2:3]
	v_fma_f64 v[44:45], v[251:252], s[12:13], -v[48:49]
	v_add_f64_e32 v[30:31], v[44:45], v[30:31]
	v_fma_f64 v[44:45], v[170:171], s[20:21], v[50:51]
	s_delay_alu instid0(VALU_DEP_2) | instskip(NEXT) | instid1(VALU_DEP_2)
	v_add_f64_e32 v[195:196], v[42:43], v[30:31]
	v_add_f64_e32 v[193:194], v[44:45], v[2:3]
	v_fma_f64 v[2:3], v[217:218], s[12:13], v[14:15]
	v_fma_f64 v[14:15], v[227:228], s[12:13], -v[28:29]
	v_fma_f64 v[28:29], v[233:234], s[20:21], v[32:33]
	s_delay_alu instid0(VALU_DEP_3) | instskip(NEXT) | instid1(VALU_DEP_3)
	v_add_f64_e32 v[2:3], v[2:3], v[199:200]
	v_add_f64_e32 v[14:15], v[14:15], v[203:204]
	s_delay_alu instid0(VALU_DEP_2) | instskip(SKIP_1) | instid1(VALU_DEP_1)
	v_add_f64_e32 v[2:3], v[28:29], v[2:3]
	v_fma_f64 v[28:29], v[239:240], s[20:21], -v[34:35]
	v_add_f64_e32 v[14:15], v[28:29], v[14:15]
	v_fma_f64 v[28:29], v[245:246], s[24:25], v[36:37]
	s_delay_alu instid0(VALU_DEP_1) | instskip(SKIP_1) | instid1(VALU_DEP_1)
	v_add_f64_e32 v[2:3], v[28:29], v[2:3]
	v_fma_f64 v[28:29], v[251:252], s[24:25], -v[38:39]
	v_add_f64_e32 v[14:15], v[28:29], v[14:15]
	v_fma_f64 v[28:29], v[170:171], s[18:19], v[40:41]
	s_delay_alu instid0(VALU_DEP_2) | instskip(NEXT) | instid1(VALU_DEP_2)
	v_add_f64_e32 v[199:200], v[26:27], v[14:15]
	v_add_f64_e32 v[197:198], v[28:29], v[2:3]
	v_fma_f64 v[2:3], v[217:218], s[18:19], v[8:9]
	v_fma_f64 v[8:9], v[227:228], s[18:19], -v[12:13]
	v_fma_f64 v[12:13], v[233:234], s[12:13], v[16:17]
	v_fma_f64 v[14:15], v[245:246], s[18:19], -v[247:248]
	v_fma_f64 v[16:17], v[251:252], s[18:19], v[253:254]
	v_add_f64_e32 v[2:3], v[2:3], v[211:212]
	v_add_f64_e32 v[8:9], v[8:9], v[201:202]
	s_delay_alu instid0(VALU_DEP_2) | instskip(SKIP_1) | instid1(VALU_DEP_1)
	v_add_f64_e32 v[2:3], v[12:13], v[2:3]
	v_fma_f64 v[12:13], v[239:240], s[12:13], -v[18:19]
	v_add_f64_e32 v[8:9], v[12:13], v[8:9]
	v_fma_f64 v[12:13], v[245:246], s[22:23], v[20:21]
	s_delay_alu instid0(VALU_DEP_1) | instskip(SKIP_1) | instid1(VALU_DEP_1)
	v_add_f64_e32 v[2:3], v[12:13], v[2:3]
	v_fma_f64 v[12:13], v[251:252], s[22:23], -v[22:23]
	v_add_f64_e32 v[8:9], v[12:13], v[8:9]
	v_fma_f64 v[12:13], v[170:171], s[24:25], v[24:25]
	s_delay_alu instid0(VALU_DEP_2) | instskip(NEXT) | instid1(VALU_DEP_2)
	v_add_f64_e32 v[203:204], v[10:11], v[8:9]
	v_add_f64_e32 v[201:202], v[12:13], v[2:3]
	v_fma_f64 v[2:3], v[217:218], s[20:21], -v[223:224]
	v_fma_f64 v[10:11], v[233:234], s[22:23], -v[235:236]
	v_fma_f64 v[8:9], v[227:228], s[20:21], v[229:230]
	v_fma_f64 v[12:13], v[239:240], s[22:23], v[241:242]
	s_delay_alu instid0(VALU_DEP_4) | instskip(NEXT) | instid1(VALU_DEP_3)
	v_add_f64_e32 v[2:3], v[2:3], v[207:208]
	v_add_f64_e32 v[8:9], v[8:9], v[209:210]
	s_delay_alu instid0(VALU_DEP_2) | instskip(NEXT) | instid1(VALU_DEP_2)
	v_add_f64_e32 v[2:3], v[10:11], v[2:3]
	v_add_f64_e32 v[8:9], v[12:13], v[8:9]
	s_delay_alu instid0(VALU_DEP_2) | instskip(NEXT) | instid1(VALU_DEP_2)
	v_add_f64_e32 v[2:3], v[14:15], v[2:3]
	v_add_f64_e32 v[6:7], v[16:17], v[8:9]
	s_delay_alu instid0(VALU_DEP_2) | instskip(SKIP_2) | instid1(VALU_DEP_4)
	v_add_f64_e32 v[205:206], v[0:1], v[2:3]
	v_add_f64_e32 v[0:1], v[219:220], v[130:131]
	;; [unrolled: 1-line block ×4, first 2 shown]
	s_delay_alu instid0(VALU_DEP_3) | instskip(NEXT) | instid1(VALU_DEP_3)
	v_add_f64_e32 v[0:1], v[0:1], v[138:139]
	v_add_f64_e32 v[2:3], v[2:3], v[140:141]
	s_delay_alu instid0(VALU_DEP_2) | instskip(NEXT) | instid1(VALU_DEP_2)
	v_add_f64_e32 v[0:1], v[0:1], v[142:143]
	v_add_f64_e32 v[2:3], v[2:3], v[146:147]
	s_delay_alu instid0(VALU_DEP_2) | instskip(NEXT) | instid1(VALU_DEP_2)
	v_add_f64_e32 v[0:1], v[0:1], v[150:151]
	v_add_f64_e32 v[2:3], v[2:3], v[152:153]
	s_delay_alu instid0(VALU_DEP_2) | instskip(NEXT) | instid1(VALU_DEP_2)
	v_add_f64_e32 v[0:1], v[0:1], v[154:155]
	v_add_f64_e32 v[2:3], v[2:3], v[156:157]
	s_delay_alu instid0(VALU_DEP_2) | instskip(NEXT) | instid1(VALU_DEP_2)
	v_add_f64_e32 v[0:1], v[0:1], v[144:145]
	v_add_f64_e32 v[2:3], v[2:3], v[148:149]
	s_delay_alu instid0(VALU_DEP_2) | instskip(NEXT) | instid1(VALU_DEP_2)
	v_add_f64_e32 v[0:1], v[0:1], v[136:137]
	v_add_f64_e32 v[2:3], v[2:3], v[134:135]
	s_delay_alu instid0(VALU_DEP_2) | instskip(NEXT) | instid1(VALU_DEP_2)
	v_add_f64_e32 v[0:1], v[0:1], v[128:129]
	v_add_f64_e32 v[2:3], v[2:3], v[126:127]
	s_delay_alu instid0(VALU_DEP_2) | instskip(NEXT) | instid1(VALU_DEP_2)
	v_add_f64_e32 v[126:127], v[0:1], v[122:123]
	v_add_f64_e32 v[128:129], v[2:3], v[120:121]
	ds_store_b128 v166, v[173:176] offset:1056
	ds_store_b128 v166, v[177:180] offset:1584
	;; [unrolled: 1-line block ×10, first 2 shown]
	ds_store_b128 v166, v[126:129]
	global_wb scope:SCOPE_SE
	s_wait_dscnt 0x0
	s_barrier_signal -1
	s_barrier_wait -1
	global_inv scope:SCOPE_SE
	global_load_b128 v[120:123], v[124:125], off offset:5808
	ds_load_b128 v[124:127], v166
	ds_load_b128 v[128:131], v166 offset:528
	s_clause 0x1
	global_load_b128 v[132:135], v158, s[8:9] offset:528
	global_load_b128 v[136:139], v158, s[8:9] offset:1056
	s_wait_loadcnt_dscnt 0x201
	v_mul_f64_e32 v[0:1], v[126:127], v[122:123]
	v_mul_f64_e32 v[2:3], v[124:125], v[122:123]
	s_delay_alu instid0(VALU_DEP_2) | instskip(NEXT) | instid1(VALU_DEP_2)
	v_fma_f64 v[122:123], v[124:125], v[120:121], -v[0:1]
	v_fma_f64 v[124:125], v[126:127], v[120:121], v[2:3]
	s_wait_loadcnt_dscnt 0x100
	v_mul_f64_e32 v[0:1], v[130:131], v[134:135]
	v_mul_f64_e32 v[2:3], v[128:129], v[134:135]
	s_delay_alu instid0(VALU_DEP_2) | instskip(NEXT) | instid1(VALU_DEP_2)
	v_fma_f64 v[126:127], v[128:129], v[132:133], -v[0:1]
	v_fma_f64 v[128:129], v[130:131], v[132:133], v[2:3]
	ds_load_b128 v[130:133], v166 offset:1056
	ds_load_b128 v[140:143], v166 offset:1584
	s_wait_loadcnt_dscnt 0x1
	v_mul_f64_e32 v[0:1], v[132:133], v[138:139]
	v_mul_f64_e32 v[2:3], v[130:131], v[138:139]
	s_delay_alu instid0(VALU_DEP_2) | instskip(NEXT) | instid1(VALU_DEP_2)
	v_fma_f64 v[130:131], v[130:131], v[136:137], -v[0:1]
	v_fma_f64 v[132:133], v[132:133], v[136:137], v[2:3]
	s_clause 0x1
	global_load_b128 v[134:137], v158, s[8:9] offset:1584
	global_load_b128 v[144:147], v158, s[8:9] offset:2112
	s_wait_loadcnt_dscnt 0x100
	v_mul_f64_e32 v[0:1], v[142:143], v[136:137]
	v_mul_f64_e32 v[2:3], v[140:141], v[136:137]
	s_delay_alu instid0(VALU_DEP_2) | instskip(NEXT) | instid1(VALU_DEP_2)
	v_fma_f64 v[136:137], v[140:141], v[134:135], -v[0:1]
	v_fma_f64 v[138:139], v[142:143], v[134:135], v[2:3]
	ds_load_b128 v[140:143], v166 offset:2112
	ds_load_b128 v[148:151], v166 offset:2640
	s_wait_loadcnt_dscnt 0x1
	v_mul_f64_e32 v[0:1], v[142:143], v[146:147]
	v_mul_f64_e32 v[2:3], v[140:141], v[146:147]
	s_delay_alu instid0(VALU_DEP_2) | instskip(NEXT) | instid1(VALU_DEP_2)
	v_fma_f64 v[140:141], v[140:141], v[144:145], -v[0:1]
	v_fma_f64 v[142:143], v[142:143], v[144:145], v[2:3]
	s_clause 0x1
	global_load_b128 v[144:147], v158, s[8:9] offset:2640
	global_load_b128 v[152:155], v158, s[8:9] offset:3168
	ds_load_b128 v[160:163], v166 offset:3168
	ds_load_b128 v[173:176], v166 offset:3696
	s_wait_loadcnt_dscnt 0x102
	v_mul_f64_e32 v[0:1], v[150:151], v[146:147]
	v_mul_f64_e32 v[2:3], v[148:149], v[146:147]
	s_delay_alu instid0(VALU_DEP_2) | instskip(NEXT) | instid1(VALU_DEP_2)
	v_fma_f64 v[146:147], v[148:149], v[144:145], -v[0:1]
	v_fma_f64 v[148:149], v[150:151], v[144:145], v[2:3]
	s_wait_loadcnt_dscnt 0x1
	v_mul_f64_e32 v[0:1], v[162:163], v[154:155]
	v_mul_f64_e32 v[2:3], v[160:161], v[154:155]
	s_delay_alu instid0(VALU_DEP_2) | instskip(NEXT) | instid1(VALU_DEP_2)
	v_fma_f64 v[150:151], v[160:161], v[152:153], -v[0:1]
	v_fma_f64 v[152:153], v[162:163], v[152:153], v[2:3]
	s_clause 0x1
	global_load_b128 v[154:157], v158, s[8:9] offset:3696
	global_load_b128 v[160:163], v158, s[8:9] offset:4224
	s_wait_loadcnt_dscnt 0x100
	v_mul_f64_e32 v[0:1], v[175:176], v[156:157]
	v_mul_f64_e32 v[2:3], v[173:174], v[156:157]
	s_delay_alu instid0(VALU_DEP_2) | instskip(NEXT) | instid1(VALU_DEP_2)
	v_fma_f64 v[173:174], v[173:174], v[154:155], -v[0:1]
	v_fma_f64 v[175:176], v[175:176], v[154:155], v[2:3]
	ds_load_b128 v[154:157], v166 offset:4224
	ds_load_b128 v[177:180], v166 offset:4752
	s_wait_loadcnt_dscnt 0x1
	v_mul_f64_e32 v[0:1], v[156:157], v[162:163]
	v_mul_f64_e32 v[2:3], v[154:155], v[162:163]
	s_delay_alu instid0(VALU_DEP_2) | instskip(NEXT) | instid1(VALU_DEP_2)
	v_fma_f64 v[154:155], v[154:155], v[160:161], -v[0:1]
	v_fma_f64 v[156:157], v[156:157], v[160:161], v[2:3]
	s_clause 0x1
	global_load_b128 v[160:163], v158, s[8:9] offset:4752
	global_load_b128 v[181:184], v158, s[8:9] offset:5280
	s_mov_b32 s9, 0x3fe82f19
	s_mov_b32 s8, s10
	s_wait_loadcnt_dscnt 0x100
	v_mul_f64_e32 v[0:1], v[179:180], v[162:163]
	v_mul_f64_e32 v[2:3], v[177:178], v[162:163]
	s_delay_alu instid0(VALU_DEP_2) | instskip(NEXT) | instid1(VALU_DEP_2)
	v_fma_f64 v[177:178], v[177:178], v[160:161], -v[0:1]
	v_fma_f64 v[179:180], v[179:180], v[160:161], v[2:3]
	ds_load_b128 v[160:163], v166 offset:5280
	s_wait_loadcnt_dscnt 0x0
	v_mul_f64_e32 v[0:1], v[162:163], v[183:184]
	v_mul_f64_e32 v[2:3], v[160:161], v[183:184]
	s_delay_alu instid0(VALU_DEP_2) | instskip(NEXT) | instid1(VALU_DEP_2)
	v_fma_f64 v[160:161], v[160:161], v[181:182], -v[0:1]
	v_fma_f64 v[162:163], v[162:163], v[181:182], v[2:3]
	ds_store_b128 v166, v[122:125]
	ds_store_b128 v166, v[126:129] offset:528
	ds_store_b128 v166, v[130:133] offset:1056
	;; [unrolled: 1-line block ×10, first 2 shown]
	global_wb scope:SCOPE_SE
	s_wait_dscnt 0x0
	s_barrier_signal -1
	s_barrier_wait -1
	global_inv scope:SCOPE_SE
	ds_load_b128 v[120:123], v166
	ds_load_b128 v[124:127], v166 offset:528
	ds_load_b128 v[128:131], v166 offset:1056
	;; [unrolled: 1-line block ×7, first 2 shown]
	s_wait_dscnt 0x6
	v_add_f64_e32 v[0:1], v[120:121], v[124:125]
	v_add_f64_e32 v[2:3], v[122:123], v[126:127]
	s_wait_dscnt 0x1
	v_add_f64_e32 v[4:5], v[140:141], v[144:145]
	v_add_f64_e32 v[6:7], v[142:143], v[146:147]
	v_add_f64_e64 v[8:9], v[140:141], -v[144:145]
	v_add_f64_e64 v[10:11], v[142:143], -v[146:147]
	s_wait_dscnt 0x0
	v_add_f64_e32 v[12:13], v[136:137], v[148:149]
	v_add_f64_e32 v[14:15], v[138:139], v[150:151]
	v_add_f64_e64 v[16:17], v[138:139], -v[150:151]
	v_add_f64_e64 v[18:19], v[136:137], -v[148:149]
	v_add_f64_e32 v[0:1], v[0:1], v[128:129]
	v_add_f64_e32 v[2:3], v[2:3], v[130:131]
	v_mul_f64_e32 v[177:178], s[34:35], v[10:11]
	v_mul_f64_e32 v[187:188], s[10:11], v[10:11]
	v_mul_f64_e32 v[175:176], s[22:23], v[14:15]
	v_mul_f64_e32 v[173:174], s[30:31], v[16:17]
	v_mul_f64_e32 v[183:184], s[26:27], v[16:17]
	v_mul_f64_e32 v[185:186], s[24:25], v[14:15]
	v_mul_f64_e32 v[195:196], s[2:3], v[16:17]
	v_mul_f64_e32 v[197:198], s[12:13], v[14:15]
	v_mul_f64_e32 v[199:200], s[36:37], v[10:11]
	v_mul_f64_e32 v[205:206], s[36:37], v[16:17]
	v_mul_f64_e32 v[207:208], s[20:21], v[14:15]
	v_mul_f64_e32 v[209:210], s[16:17], v[10:11]
	v_mul_f64_e32 v[16:17], s[10:11], v[16:17]
	v_mul_f64_e32 v[14:15], s[18:19], v[14:15]
	v_mul_f64_e32 v[10:11], s[2:3], v[10:11]
	v_add_f64_e32 v[0:1], v[0:1], v[132:133]
	v_add_f64_e32 v[2:3], v[2:3], v[134:135]
	s_delay_alu instid0(VALU_DEP_2) | instskip(NEXT) | instid1(VALU_DEP_2)
	v_add_f64_e32 v[0:1], v[0:1], v[136:137]
	v_add_f64_e32 v[2:3], v[2:3], v[138:139]
	s_delay_alu instid0(VALU_DEP_2) | instskip(NEXT) | instid1(VALU_DEP_2)
	v_add_f64_e32 v[0:1], v[0:1], v[140:141]
	v_add_f64_e32 v[2:3], v[2:3], v[142:143]
	ds_load_b128 v[136:139], v166 offset:4224
	ds_load_b128 v[140:143], v166 offset:4752
	s_wait_dscnt 0x1
	v_add_f64_e64 v[20:21], v[134:135], -v[138:139]
	s_wait_dscnt 0x0
	v_add_f64_e64 v[28:29], v[130:131], -v[142:143]
	v_add_f64_e32 v[30:31], v[130:131], v[142:143]
	v_add_f64_e32 v[32:33], v[128:129], v[140:141]
	v_add_f64_e64 v[34:35], v[128:129], -v[140:141]
	ds_load_b128 v[128:131], v166 offset:5280
	v_add_f64_e32 v[22:23], v[134:135], v[138:139]
	v_add_f64_e32 v[24:25], v[132:133], v[136:137]
	v_add_f64_e64 v[26:27], v[132:133], -v[136:137]
	global_wb scope:SCOPE_SE
	s_wait_dscnt 0x0
	s_barrier_signal -1
	s_barrier_wait -1
	global_inv scope:SCOPE_SE
	v_add_f64_e32 v[0:1], v[0:1], v[144:145]
	v_add_f64_e32 v[2:3], v[2:3], v[146:147]
	v_add_f64_e64 v[36:37], v[126:127], -v[130:131]
	v_add_f64_e32 v[38:39], v[126:127], v[130:131]
	v_add_f64_e32 v[40:41], v[124:125], v[128:129]
	v_add_f64_e64 v[42:43], v[124:125], -v[128:129]
	v_mul_f64_e32 v[168:169], s[28:29], v[20:21]
	v_mul_f64_e32 v[160:161], s[28:29], v[28:29]
	;; [unrolled: 1-line block ×14, first 2 shown]
	v_add_f64_e32 v[0:1], v[0:1], v[148:149]
	v_add_f64_e32 v[2:3], v[2:3], v[150:151]
	v_mul_f64_e32 v[148:149], s[34:35], v[28:29]
	v_mul_f64_e32 v[150:151], s[24:25], v[30:31]
	;; [unrolled: 1-line block ×7, first 2 shown]
	v_add_f64_e32 v[0:1], v[0:1], v[136:137]
	v_add_f64_e32 v[2:3], v[2:3], v[138:139]
	v_fma_f64 v[80:81], v[40:41], s[22:23], v[44:45]
	v_fma_f64 v[44:45], v[40:41], s[22:23], -v[44:45]
	v_fma_f64 v[82:83], v[40:41], s[18:19], v[46:47]
	v_fma_f64 v[46:47], v[40:41], s[18:19], -v[46:47]
	v_fma_f64 v[138:139], v[42:43], s[36:37], v[126:127]
	v_fma_f64 v[126:127], v[42:43], s[14:15], v[126:127]
	v_add_f64_e32 v[0:1], v[0:1], v[140:141]
	v_add_f64_e32 v[2:3], v[2:3], v[142:143]
	v_fma_f64 v[140:141], v[42:43], s[30:31], v[132:133]
	v_fma_f64 v[132:133], v[42:43], s[16:17], v[132:133]
	s_wait_alu 0xfffe
	v_fma_f64 v[142:143], v[42:43], s[8:9], v[134:135]
	v_fma_f64 v[134:135], v[42:43], s[10:11], v[134:135]
	v_add_f64_e32 v[80:81], v[120:121], v[80:81]
	v_add_f64_e32 v[44:45], v[120:121], v[44:45]
	;; [unrolled: 1-line block ×7, first 2 shown]
	v_mul_f64_e32 v[0:1], s[26:27], v[36:37]
	v_mul_f64_e32 v[2:3], s[14:15], v[36:37]
	;; [unrolled: 1-line block ×3, first 2 shown]
	v_add_f64_e32 v[156:157], v[122:123], v[132:133]
	v_add_f64_e32 v[152:153], v[122:123], v[134:135]
	v_fma_f64 v[134:135], v[24:25], s[12:13], v[168:169]
	v_fma_f64 v[48:49], v[40:41], s[24:25], v[0:1]
	v_fma_f64 v[0:1], v[40:41], s[24:25], -v[0:1]
	v_fma_f64 v[50:51], v[40:41], s[20:21], v[2:3]
	v_fma_f64 v[2:3], v[40:41], s[20:21], -v[2:3]
	;; [unrolled: 2-line block ×3, first 2 shown]
	v_mul_f64_e32 v[40:41], s[24:25], v[38:39]
	v_mul_f64_e32 v[38:39], s[12:13], v[38:39]
	v_add_f64_e32 v[0:1], v[120:121], v[0:1]
	v_add_f64_e32 v[50:51], v[120:121], v[50:51]
	;; [unrolled: 1-line block ×5, first 2 shown]
	v_fma_f64 v[136:137], v[42:43], s[26:27], v[40:41]
	v_fma_f64 v[40:41], v[42:43], s[34:35], v[40:41]
	;; [unrolled: 1-line block ×4, first 2 shown]
	v_add_f64_e32 v[42:43], v[120:121], v[48:49]
	v_mul_f64_e32 v[120:121], s[10:11], v[28:29]
	v_add_f64_e32 v[48:49], v[122:123], v[136:137]
	v_add_f64_e32 v[40:41], v[122:123], v[40:41]
	;; [unrolled: 1-line block ×7, first 2 shown]
	v_fma_f64 v[122:123], v[32:33], s[18:19], v[120:121]
	s_delay_alu instid0(VALU_DEP_1) | instskip(SKIP_2) | instid1(VALU_DEP_3)
	v_add_f64_e32 v[50:51], v[122:123], v[50:51]
	v_mul_f64_e32 v[122:123], s[18:19], v[30:31]
	v_mul_f64_e32 v[30:31], s[20:21], v[30:31]
	v_add_f64_e32 v[50:51], v[134:135], v[50:51]
	s_delay_alu instid0(VALU_DEP_3) | instskip(SKIP_1) | instid1(VALU_DEP_2)
	v_fma_f64 v[132:133], v[34:35], s[8:9], v[122:123]
	v_fma_f64 v[134:135], v[26:27], s[2:3], v[170:171]
	v_add_f64_e32 v[132:133], v[132:133], v[136:137]
	s_delay_alu instid0(VALU_DEP_1) | instskip(SKIP_1) | instid1(VALU_DEP_1)
	v_add_f64_e32 v[132:133], v[134:135], v[132:133]
	v_fma_f64 v[134:135], v[12:13], s[22:23], v[173:174]
	v_add_f64_e32 v[50:51], v[134:135], v[50:51]
	v_fma_f64 v[134:135], v[18:19], s[16:17], v[175:176]
	s_delay_alu instid0(VALU_DEP_1) | instskip(SKIP_1) | instid1(VALU_DEP_1)
	v_add_f64_e32 v[134:135], v[134:135], v[132:133]
	v_fma_f64 v[132:133], v[4:5], s[24:25], v[177:178]
	v_add_f64_e32 v[132:133], v[132:133], v[50:51]
	v_mul_f64_e32 v[50:51], s[24:25], v[6:7]
	s_delay_alu instid0(VALU_DEP_1) | instskip(NEXT) | instid1(VALU_DEP_1)
	v_fma_f64 v[136:137], v[8:9], s[26:27], v[50:51]
	v_add_f64_e32 v[134:135], v[136:137], v[134:135]
	v_fma_f64 v[136:137], v[32:33], s[12:13], v[160:161]
	s_delay_alu instid0(VALU_DEP_1) | instskip(SKIP_1) | instid1(VALU_DEP_1)
	v_add_f64_e32 v[80:81], v[136:137], v[80:81]
	v_fma_f64 v[136:137], v[34:35], s[2:3], v[162:163]
	v_add_f64_e32 v[136:137], v[136:137], v[138:139]
	v_fma_f64 v[138:139], v[24:25], s[20:21], v[179:180]
	s_delay_alu instid0(VALU_DEP_1) | instskip(SKIP_1) | instid1(VALU_DEP_1)
	v_add_f64_e32 v[80:81], v[138:139], v[80:81]
	;; [unrolled: 5-line block ×4, first 2 shown]
	v_mul_f64_e32 v[80:81], s[18:19], v[6:7]
	v_fma_f64 v[142:143], v[8:9], s[8:9], v[80:81]
	s_delay_alu instid0(VALU_DEP_1) | instskip(SKIP_1) | instid1(VALU_DEP_1)
	v_add_f64_e32 v[138:139], v[142:143], v[138:139]
	v_fma_f64 v[142:143], v[32:33], s[22:23], v[154:155]
	v_add_f64_e32 v[82:83], v[142:143], v[82:83]
	v_fma_f64 v[142:143], v[34:35], s[16:17], v[189:190]
	s_delay_alu instid0(VALU_DEP_1) | instskip(SKIP_1) | instid1(VALU_DEP_1)
	v_add_f64_e32 v[140:141], v[142:143], v[140:141]
	v_fma_f64 v[142:143], v[24:25], s[24:25], v[191:192]
	v_add_f64_e32 v[82:83], v[142:143], v[82:83]
	;; [unrolled: 5-line block ×4, first 2 shown]
	v_mul_f64_e32 v[82:83], s[20:21], v[6:7]
	s_delay_alu instid0(VALU_DEP_1) | instskip(SKIP_1) | instid1(VALU_DEP_2)
	v_fma_f64 v[146:147], v[8:9], s[14:15], v[82:83]
	v_fma_f64 v[82:83], v[8:9], s[36:37], v[82:83]
	v_add_f64_e32 v[142:143], v[146:147], v[142:143]
	v_fma_f64 v[146:147], v[32:33], s[24:25], v[148:149]
	v_fma_f64 v[148:149], v[32:33], s[24:25], -v[148:149]
	s_delay_alu instid0(VALU_DEP_2) | instskip(SKIP_1) | instid1(VALU_DEP_3)
	v_add_f64_e32 v[124:125], v[146:147], v[124:125]
	v_fma_f64 v[146:147], v[34:35], s[26:27], v[150:151]
	v_add_f64_e32 v[36:37], v[148:149], v[36:37]
	v_fma_f64 v[148:149], v[34:35], s[34:35], v[150:151]
	s_delay_alu instid0(VALU_DEP_3) | instskip(SKIP_1) | instid1(VALU_DEP_3)
	v_add_f64_e32 v[144:145], v[146:147], v[144:145]
	v_fma_f64 v[146:147], v[24:25], s[18:19], v[201:202]
	v_add_f64_e32 v[38:39], v[148:149], v[38:39]
	v_fma_f64 v[148:149], v[24:25], s[18:19], -v[201:202]
	s_delay_alu instid0(VALU_DEP_3) | instskip(SKIP_1) | instid1(VALU_DEP_3)
	v_add_f64_e32 v[124:125], v[146:147], v[124:125]
	v_fma_f64 v[146:147], v[26:27], s[8:9], v[203:204]
	v_add_f64_e32 v[36:37], v[148:149], v[36:37]
	v_fma_f64 v[148:149], v[26:27], s[10:11], v[203:204]
	s_delay_alu instid0(VALU_DEP_3) | instskip(SKIP_1) | instid1(VALU_DEP_3)
	v_add_f64_e32 v[144:145], v[146:147], v[144:145]
	v_fma_f64 v[146:147], v[12:13], s[20:21], v[205:206]
	v_add_f64_e32 v[38:39], v[148:149], v[38:39]
	v_fma_f64 v[148:149], v[12:13], s[20:21], -v[205:206]
	s_delay_alu instid0(VALU_DEP_3) | instskip(SKIP_1) | instid1(VALU_DEP_3)
	;; [unrolled: 10-line block ×3, first 2 shown]
	v_add_f64_e32 v[144:145], v[144:145], v[124:125]
	v_mul_f64_e32 v[124:125], s[22:23], v[6:7]
	v_add_f64_e32 v[148:149], v[148:149], v[36:37]
	v_fma_f64 v[36:37], v[32:33], s[22:23], -v[154:155]
	v_mul_f64_e32 v[6:7], s[12:13], v[6:7]
	s_delay_alu instid0(VALU_DEP_4) | instskip(SKIP_1) | instid1(VALU_DEP_4)
	v_fma_f64 v[211:212], v[8:9], s[30:31], v[124:125]
	v_fma_f64 v[124:125], v[8:9], s[16:17], v[124:125]
	v_add_f64_e32 v[36:37], v[36:37], v[46:47]
	v_fma_f64 v[46:47], v[24:25], s[24:25], -v[191:192]
	s_delay_alu instid0(VALU_DEP_4) | instskip(NEXT) | instid1(VALU_DEP_4)
	v_add_f64_e32 v[146:147], v[211:212], v[146:147]
	v_add_f64_e32 v[150:151], v[124:125], v[38:39]
	v_fma_f64 v[38:39], v[34:35], s[30:31], v[189:190]
	s_delay_alu instid0(VALU_DEP_4) | instskip(SKIP_1) | instid1(VALU_DEP_3)
	v_add_f64_e32 v[36:37], v[46:47], v[36:37]
	v_fma_f64 v[46:47], v[26:27], s[26:27], v[193:194]
	v_add_f64_e32 v[38:39], v[38:39], v[152:153]
	s_delay_alu instid0(VALU_DEP_1) | instskip(SKIP_1) | instid1(VALU_DEP_1)
	v_add_f64_e32 v[38:39], v[46:47], v[38:39]
	v_fma_f64 v[46:47], v[12:13], s[12:13], -v[195:196]
	v_add_f64_e32 v[36:37], v[46:47], v[36:37]
	v_fma_f64 v[46:47], v[18:19], s[2:3], v[197:198]
	s_delay_alu instid0(VALU_DEP_1) | instskip(SKIP_1) | instid1(VALU_DEP_2)
	v_add_f64_e32 v[38:39], v[46:47], v[38:39]
	v_fma_f64 v[46:47], v[4:5], s[20:21], -v[199:200]
	v_add_f64_e32 v[154:155], v[82:83], v[38:39]
	s_delay_alu instid0(VALU_DEP_2) | instskip(SKIP_3) | instid1(VALU_DEP_3)
	v_add_f64_e32 v[152:153], v[46:47], v[36:37]
	v_fma_f64 v[36:37], v[32:33], s[12:13], -v[160:161]
	v_fma_f64 v[38:39], v[34:35], s[28:29], v[162:163]
	v_fma_f64 v[46:47], v[8:9], s[10:11], v[80:81]
	v_add_f64_e32 v[36:37], v[36:37], v[44:45]
	v_fma_f64 v[44:45], v[24:25], s[20:21], -v[179:180]
	s_delay_alu instid0(VALU_DEP_4) | instskip(NEXT) | instid1(VALU_DEP_2)
	v_add_f64_e32 v[38:39], v[38:39], v[156:157]
	v_add_f64_e32 v[36:37], v[44:45], v[36:37]
	v_fma_f64 v[44:45], v[26:27], s[36:37], v[181:182]
	s_delay_alu instid0(VALU_DEP_1) | instskip(SKIP_1) | instid1(VALU_DEP_1)
	v_add_f64_e32 v[38:39], v[44:45], v[38:39]
	v_fma_f64 v[44:45], v[12:13], s[24:25], -v[183:184]
	v_add_f64_e32 v[36:37], v[44:45], v[36:37]
	v_fma_f64 v[44:45], v[18:19], s[26:27], v[185:186]
	s_delay_alu instid0(VALU_DEP_1) | instskip(SKIP_1) | instid1(VALU_DEP_2)
	v_add_f64_e32 v[38:39], v[44:45], v[38:39]
	v_fma_f64 v[44:45], v[4:5], s[18:19], -v[187:188]
	v_add_f64_e32 v[162:163], v[46:47], v[38:39]
	s_delay_alu instid0(VALU_DEP_2) | instskip(SKIP_3) | instid1(VALU_DEP_3)
	v_add_f64_e32 v[160:161], v[44:45], v[36:37]
	v_fma_f64 v[36:37], v[32:33], s[18:19], -v[120:121]
	v_fma_f64 v[38:39], v[24:25], s[12:13], -v[168:169]
	v_fma_f64 v[44:45], v[8:9], s[34:35], v[50:51]
	v_add_f64_e32 v[2:3], v[36:37], v[2:3]
	v_fma_f64 v[36:37], v[34:35], s[10:11], v[122:123]
	s_delay_alu instid0(VALU_DEP_2) | instskip(NEXT) | instid1(VALU_DEP_2)
	v_add_f64_e32 v[2:3], v[38:39], v[2:3]
	v_add_f64_e32 v[36:37], v[36:37], v[126:127]
	v_fma_f64 v[38:39], v[26:27], s[28:29], v[170:171]
	s_delay_alu instid0(VALU_DEP_1) | instskip(SKIP_1) | instid1(VALU_DEP_1)
	v_add_f64_e32 v[36:37], v[38:39], v[36:37]
	v_fma_f64 v[38:39], v[12:13], s[22:23], -v[173:174]
	v_add_f64_e32 v[2:3], v[38:39], v[2:3]
	v_fma_f64 v[38:39], v[18:19], s[30:31], v[175:176]
	s_delay_alu instid0(VALU_DEP_1) | instskip(SKIP_1) | instid1(VALU_DEP_2)
	v_add_f64_e32 v[36:37], v[38:39], v[36:37]
	v_fma_f64 v[38:39], v[4:5], s[24:25], -v[177:178]
	v_add_f64_e32 v[122:123], v[44:45], v[36:37]
	s_delay_alu instid0(VALU_DEP_2) | instskip(SKIP_4) | instid1(VALU_DEP_4)
	v_add_f64_e32 v[120:121], v[38:39], v[2:3]
	v_mul_f64_e32 v[2:3], s[14:15], v[28:29]
	v_fma_f64 v[36:37], v[34:35], s[36:37], v[30:31]
	v_fma_f64 v[38:39], v[24:25], s[22:23], v[20:21]
	v_fma_f64 v[20:21], v[24:25], s[22:23], -v[20:21]
	v_fma_f64 v[28:29], v[32:33], s[20:21], v[2:3]
	s_delay_alu instid0(VALU_DEP_4) | instskip(SKIP_1) | instid1(VALU_DEP_3)
	v_add_f64_e32 v[36:37], v[36:37], v[40:41]
	v_fma_f64 v[2:3], v[32:33], s[20:21], -v[2:3]
	v_add_f64_e32 v[28:29], v[28:29], v[42:43]
	s_delay_alu instid0(VALU_DEP_2) | instskip(NEXT) | instid1(VALU_DEP_2)
	v_add_f64_e32 v[0:1], v[2:3], v[0:1]
	v_add_f64_e32 v[28:29], v[38:39], v[28:29]
	v_fma_f64 v[38:39], v[26:27], s[30:31], v[22:23]
	v_fma_f64 v[22:23], v[26:27], s[16:17], v[22:23]
	s_delay_alu instid0(VALU_DEP_4) | instskip(NEXT) | instid1(VALU_DEP_3)
	v_add_f64_e32 v[0:1], v[20:21], v[0:1]
	v_add_f64_e32 v[36:37], v[38:39], v[36:37]
	v_fma_f64 v[38:39], v[12:13], s[18:19], v[16:17]
	v_fma_f64 v[12:13], v[12:13], s[18:19], -v[16:17]
	s_delay_alu instid0(VALU_DEP_2) | instskip(SKIP_2) | instid1(VALU_DEP_4)
	v_add_f64_e32 v[28:29], v[38:39], v[28:29]
	v_fma_f64 v[38:39], v[18:19], s[8:9], v[14:15]
	v_fma_f64 v[14:15], v[18:19], s[10:11], v[14:15]
	v_add_f64_e32 v[0:1], v[12:13], v[0:1]
	s_delay_alu instid0(VALU_DEP_3) | instskip(SKIP_2) | instid1(VALU_DEP_2)
	v_add_f64_e32 v[36:37], v[38:39], v[36:37]
	v_fma_f64 v[38:39], v[4:5], s[12:13], v[10:11]
	v_fma_f64 v[4:5], v[4:5], s[12:13], -v[10:11]
	v_add_f64_e32 v[173:174], v[38:39], v[28:29]
	v_fma_f64 v[28:29], v[8:9], s[28:29], v[6:7]
	v_fma_f64 v[6:7], v[8:9], s[2:3], v[6:7]
	s_delay_alu instid0(VALU_DEP_4) | instskip(NEXT) | instid1(VALU_DEP_3)
	v_add_f64_e32 v[124:125], v[4:5], v[0:1]
	v_add_f64_e32 v[175:176], v[28:29], v[36:37]
	v_fma_f64 v[28:29], v[34:35], s[14:15], v[30:31]
	s_delay_alu instid0(VALU_DEP_1) | instskip(NEXT) | instid1(VALU_DEP_1)
	v_add_f64_e32 v[2:3], v[28:29], v[48:49]
	v_add_f64_e32 v[2:3], v[22:23], v[2:3]
	s_delay_alu instid0(VALU_DEP_1) | instskip(NEXT) | instid1(VALU_DEP_1)
	v_add_f64_e32 v[2:3], v[14:15], v[2:3]
	v_add_f64_e32 v[126:127], v[6:7], v[2:3]
	ds_store_b128 v159, v[132:135] offset:32
	ds_store_b128 v159, v[136:139] offset:48
	;; [unrolled: 1-line block ×7, first 2 shown]
	ds_store_b128 v159, v[128:131]
	ds_store_b128 v159, v[160:163] offset:128
	ds_store_b128 v159, v[120:123] offset:144
	;; [unrolled: 1-line block ×3, first 2 shown]
	global_wb scope:SCOPE_SE
	s_wait_dscnt 0x0
	s_barrier_signal -1
	s_barrier_wait -1
	global_inv scope:SCOPE_SE
	ds_load_b128 v[136:139], v166
	ds_load_b128 v[128:131], v166 offset:528
	ds_load_b128 v[152:155], v166 offset:3872
	;; [unrolled: 1-line block ×8, first 2 shown]
	s_and_saveexec_b32 s2, vcc_lo
	s_cbranch_execz .LBB0_7
; %bb.6:
	ds_load_b128 v[120:123], v166 offset:1584
	ds_load_b128 v[124:127], v166 offset:3520
	;; [unrolled: 1-line block ×3, first 2 shown]
	s_wait_dscnt 0x0
	scratch_store_b128 off, v[0:3], off offset:4 ; 16-byte Folded Spill
.LBB0_7:
	s_wait_alu 0xfffe
	s_or_b32 exec_lo, exec_lo, s2
	s_wait_dscnt 0x4
	v_mul_f64_e32 v[0:1], v[66:67], v[162:163]
	v_mul_f64_e32 v[2:3], v[62:63], v[154:155]
	;; [unrolled: 1-line block ×4, first 2 shown]
	s_wait_dscnt 0x2
	v_mul_f64_e32 v[8:9], v[74:75], v[158:159]
	v_mul_f64_e32 v[10:11], v[70:71], v[142:143]
	;; [unrolled: 1-line block ×4, first 2 shown]
	s_wait_dscnt 0x1
	v_mul_f64_e32 v[16:17], v[58:59], v[146:147]
	s_wait_dscnt 0x0
	v_mul_f64_e32 v[18:19], v[54:55], v[150:151]
	v_mul_f64_e32 v[20:21], v[58:59], v[144:145]
	;; [unrolled: 1-line block ×3, first 2 shown]
	s_mov_b32 s2, 0xe8584caa
	s_mov_b32 s3, 0xbfebb67a
	;; [unrolled: 1-line block ×3, first 2 shown]
	s_wait_alu 0xfffe
	s_mov_b32 s8, s2
	global_wb scope:SCOPE_SE
	s_wait_storecnt 0x0
	s_barrier_signal -1
	s_barrier_wait -1
	global_inv scope:SCOPE_SE
	v_fma_f64 v[0:1], v[64:65], v[160:161], v[0:1]
	v_fma_f64 v[2:3], v[60:61], v[152:153], v[2:3]
	v_fma_f64 v[4:5], v[64:65], v[162:163], -v[4:5]
	v_fma_f64 v[6:7], v[60:61], v[154:155], -v[6:7]
	v_fma_f64 v[8:9], v[72:73], v[156:157], v[8:9]
	v_fma_f64 v[10:11], v[68:69], v[140:141], v[10:11]
	v_fma_f64 v[12:13], v[72:73], v[158:159], -v[12:13]
	v_fma_f64 v[14:15], v[68:69], v[142:143], -v[14:15]
	;; [unrolled: 4-line block ×3, first 2 shown]
	v_add_f64_e32 v[36:37], v[136:137], v[0:1]
	v_add_f64_e32 v[24:25], v[0:1], v[2:3]
	v_add_f64_e64 v[0:1], v[0:1], -v[2:3]
	v_add_f64_e32 v[26:27], v[4:5], v[6:7]
	v_add_f64_e64 v[38:39], v[4:5], -v[6:7]
	v_add_f64_e32 v[28:29], v[8:9], v[10:11]
	v_add_f64_e32 v[4:5], v[138:139], v[4:5]
	;; [unrolled: 1-line block ×7, first 2 shown]
	v_add_f64_e64 v[12:13], v[12:13], -v[14:15]
	v_add_f64_e64 v[8:9], v[8:9], -v[10:11]
	v_add_f64_e32 v[44:45], v[132:133], v[16:17]
	v_add_f64_e32 v[46:47], v[134:135], v[20:21]
	v_add_f64_e64 v[20:21], v[20:21], -v[22:23]
	v_add_f64_e64 v[16:17], v[16:17], -v[18:19]
	v_add_f64_e32 v[52:53], v[36:37], v[2:3]
	v_fma_f64 v[24:25], v[24:25], -0.5, v[136:137]
	v_fma_f64 v[26:27], v[26:27], -0.5, v[138:139]
	;; [unrolled: 1-line block ×3, first 2 shown]
	v_add_f64_e32 v[54:55], v[4:5], v[6:7]
	v_fma_f64 v[30:31], v[30:31], -0.5, v[130:131]
	v_add_f64_e32 v[56:57], v[40:41], v[10:11]
	v_fma_f64 v[32:33], v[32:33], -0.5, v[132:133]
	;; [unrolled: 2-line block ×3, first 2 shown]
	v_add_f64_e32 v[60:61], v[44:45], v[18:19]
	v_add_f64_e32 v[62:63], v[46:47], v[22:23]
	v_fma_f64 v[64:65], v[38:39], s[2:3], v[24:25]
	s_wait_alu 0xfffe
	v_fma_f64 v[68:69], v[38:39], s[8:9], v[24:25]
	v_fma_f64 v[66:67], v[0:1], s[8:9], v[26:27]
	;; [unrolled: 1-line block ×11, first 2 shown]
	ds_store_b128 v172, v[52:55]
	ds_store_b128 v172, v[64:67] offset:176
	ds_store_b128 v172, v[68:71] offset:352
	ds_store_b128 v167, v[56:59]
	ds_store_b128 v167, v[72:75] offset:176
	ds_store_b128 v167, v[128:131] offset:352
	;; [unrolled: 3-line block ×3, first 2 shown]
	s_and_saveexec_b32 s10, vcc_lo
	s_cbranch_execz .LBB0_9
; %bb.8:
	s_clause 0x2
	scratch_load_b128 v[12:15], off, off offset:220 th:TH_LOAD_LU
	scratch_load_b128 v[8:11], off, off offset:204 th:TH_LOAD_LU
	;; [unrolled: 1-line block ×3, first 2 shown]
	s_wait_loadcnt 0x2
	v_mul_f64_e32 v[4:5], v[14:15], v[126:127]
	s_wait_loadcnt 0x0
	v_mul_f64_e32 v[6:7], v[10:11], v[18:19]
	v_mul_f64_e32 v[0:1], v[14:15], v[124:125]
	;; [unrolled: 1-line block ×3, first 2 shown]
	s_delay_alu instid0(VALU_DEP_4) | instskip(NEXT) | instid1(VALU_DEP_4)
	v_fma_f64 v[4:5], v[12:13], v[124:125], v[4:5]
	v_fma_f64 v[6:7], v[8:9], v[16:17], v[6:7]
	s_delay_alu instid0(VALU_DEP_4) | instskip(NEXT) | instid1(VALU_DEP_4)
	v_fma_f64 v[0:1], v[12:13], v[126:127], -v[0:1]
	v_fma_f64 v[2:3], v[8:9], v[18:19], -v[2:3]
	s_delay_alu instid0(VALU_DEP_3) | instskip(NEXT) | instid1(VALU_DEP_3)
	v_add_f64_e32 v[10:11], v[4:5], v[6:7]
	v_add_f64_e32 v[14:15], v[122:123], v[0:1]
	s_delay_alu instid0(VALU_DEP_3)
	v_add_f64_e32 v[8:9], v[0:1], v[2:3]
	v_add_f64_e64 v[0:1], v[0:1], -v[2:3]
	v_add_f64_e64 v[12:13], v[4:5], -v[6:7]
	v_add_f64_e32 v[4:5], v[120:121], v[4:5]
	v_fma_f64 v[10:11], v[10:11], -0.5, v[120:121]
	v_add_f64_e32 v[46:47], v[14:15], v[2:3]
	v_fma_f64 v[8:9], v[8:9], -0.5, v[122:123]
	s_delay_alu instid0(VALU_DEP_4) | instskip(NEXT) | instid1(VALU_DEP_4)
	v_add_f64_e32 v[44:45], v[4:5], v[6:7]
	v_fma_f64 v[52:53], v[0:1], s[2:3], v[10:11]
	v_fma_f64 v[48:49], v[0:1], s[8:9], v[10:11]
	s_clause 0x1
	scratch_load_b32 v0, off, off offset:196 th:TH_LOAD_LU
	scratch_load_b32 v1, off, off offset:200 th:TH_LOAD_LU
	v_fma_f64 v[54:55], v[12:13], s[8:9], v[8:9]
	v_fma_f64 v[50:51], v[12:13], s[2:3], v[8:9]
	s_wait_loadcnt 0x1
	v_and_b32_e32 v0, 0xffff, v0
	s_delay_alu instid0(VALU_DEP_1) | instskip(SKIP_1) | instid1(VALU_DEP_1)
	v_mul_u32_u24_e32 v0, 33, v0
	s_wait_loadcnt 0x0
	v_add_nc_u32_e32 v0, v0, v1
	scratch_load_b32 v1, off, off th:TH_LOAD_LU ; 4-byte Folded Reload
	s_wait_loadcnt 0x0
	v_lshl_add_u32 v0, v0, 4, v1
	ds_store_b128 v0, v[44:47]
	ds_store_b128 v0, v[52:55] offset:176
	ds_store_b128 v0, v[48:51] offset:352
.LBB0_9:
	s_wait_alu 0xfffe
	s_or_b32 exec_lo, exec_lo, s10
	global_wb scope:SCOPE_SE
	s_wait_dscnt 0x0
	s_barrier_signal -1
	s_barrier_wait -1
	global_inv scope:SCOPE_SE
	ds_load_b128 v[44:47], v166 offset:528
	ds_load_b128 v[52:55], v166 offset:5280
	;; [unrolled: 1-line block ×9, first 2 shown]
	s_mov_b32 s2, 0xf8bb580b
	s_mov_b32 s8, 0x8764f0ba
	;; [unrolled: 1-line block ×15, first 2 shown]
	s_wait_dscnt 0x7
	v_mul_f64_e32 v[4:5], v[78:79], v[52:53]
	s_wait_dscnt 0x6
	v_mul_f64_e32 v[6:7], v[90:91], v[56:57]
	v_mul_f64_e32 v[0:1], v[86:87], v[46:47]
	;; [unrolled: 1-line block ×3, first 2 shown]
	s_wait_dscnt 0x5
	v_mul_f64_e32 v[8:9], v[94:95], v[60:61]
	v_mul_f64_e32 v[10:11], v[90:91], v[58:59]
	s_wait_dscnt 0x4
	v_mul_f64_e32 v[12:13], v[102:103], v[64:65]
	s_wait_dscnt 0x3
	v_mul_f64_e32 v[14:15], v[110:111], v[68:69]
	v_mul_f64_e32 v[18:19], v[102:103], v[66:67]
	;; [unrolled: 1-line block ×3, first 2 shown]
	s_wait_dscnt 0x2
	v_mul_f64_e32 v[26:27], v[98:99], v[72:73]
	s_wait_dscnt 0x0
	v_mul_f64_e32 v[28:29], v[106:107], v[122:123]
	v_mul_f64_e32 v[34:35], v[118:119], v[80:81]
	;; [unrolled: 1-line block ×7, first 2 shown]
	s_mov_b32 s27, 0xbfe4f49e
	s_mov_b32 s30, 0xfd768dbf
	;; [unrolled: 1-line block ×7, first 2 shown]
	s_wait_alu 0xfffe
	s_mov_b32 s10, s2
	s_mov_b32 s16, s12
	;; [unrolled: 1-line block ×8, first 2 shown]
	v_fma_f64 v[48:49], v[76:77], v[54:55], -v[4:5]
	v_fma_f64 v[4:5], v[88:89], v[58:59], -v[6:7]
	v_fma_f64 v[0:1], v[84:85], v[44:45], v[0:1]
	v_fma_f64 v[2:3], v[84:85], v[46:47], -v[2:3]
	ds_load_b128 v[84:87], v166 offset:3168
	ds_load_b128 v[44:47], v166
	v_fma_f64 v[50:51], v[92:93], v[62:63], -v[8:9]
	v_fma_f64 v[6:7], v[88:89], v[56:57], v[10:11]
	v_fma_f64 v[12:13], v[100:101], v[66:67], -v[12:13]
	v_fma_f64 v[56:57], v[108:109], v[70:71], -v[14:15]
	v_fma_f64 v[14:15], v[100:101], v[64:65], v[18:19]
	v_fma_f64 v[54:55], v[92:93], v[60:61], v[20:21]
	v_fma_f64 v[18:19], v[96:97], v[74:75], -v[26:27]
	v_fma_f64 v[20:21], v[104:105], v[120:121], v[28:29]
	v_fma_f64 v[26:27], v[116:117], v[82:83], -v[34:35]
	v_fma_f64 v[52:53], v[76:77], v[52:53], v[16:17]
	v_fma_f64 v[16:17], v[96:97], v[72:73], v[22:23]
	;; [unrolled: 1-line block ×3, first 2 shown]
	v_fma_f64 v[22:23], v[104:105], v[122:123], -v[30:31]
	v_fma_f64 v[24:25], v[116:117], v[80:81], v[32:33]
	s_wait_dscnt 0x1
	v_mul_f64_e32 v[36:37], v[114:115], v[86:87]
	v_mul_f64_e32 v[38:39], v[114:115], v[84:85]
	s_wait_dscnt 0x0
	v_add_f64_e32 v[8:9], v[44:45], v[0:1]
	v_add_f64_e32 v[10:11], v[46:47], v[2:3]
	v_add_f64_e64 v[32:33], v[2:3], -v[48:49]
	v_add_f64_e32 v[2:3], v[2:3], v[48:49]
	v_add_f64_e64 v[34:35], v[4:5], -v[50:51]
	v_add_f64_e32 v[42:43], v[6:7], v[54:55]
	v_add_f64_e32 v[40:41], v[0:1], v[52:53]
	v_add_f64_e64 v[0:1], v[0:1], -v[52:53]
	v_add_f64_e32 v[64:65], v[16:17], v[20:21]
	v_add_f64_e32 v[66:67], v[18:19], v[22:23]
	v_add_f64_e64 v[68:69], v[18:19], -v[22:23]
	v_add_f64_e64 v[70:71], v[16:17], -v[20:21]
	v_add_f64_e32 v[60:61], v[14:15], v[58:59]
	v_add_f64_e64 v[62:63], v[14:15], -v[58:59]
	v_fma_f64 v[28:29], v[112:113], v[84:85], v[36:37]
	v_add_f64_e32 v[36:37], v[4:5], v[50:51]
	v_fma_f64 v[30:31], v[112:113], v[86:87], -v[38:39]
	v_add_f64_e32 v[38:39], v[12:13], v[56:57]
	v_add_f64_e32 v[8:9], v[8:9], v[6:7]
	;; [unrolled: 1-line block ×3, first 2 shown]
	v_mul_f64_e32 v[80:81], s[2:3], v[32:33]
	v_mul_f64_e32 v[82:83], s[8:9], v[2:3]
	;; [unrolled: 1-line block ×10, first 2 shown]
	v_add_f64_e64 v[10:11], v[12:13], -v[56:57]
	v_add_f64_e64 v[6:7], v[6:7], -v[54:55]
	v_mul_f64_e32 v[96:97], s[12:13], v[34:35]
	v_mul_f64_e32 v[100:101], s[24:25], v[34:35]
	s_wait_alu 0xfffe
	v_mul_f64_e32 v[104:105], s[22:23], v[34:35]
	v_mul_f64_e32 v[124:125], s[24:25], v[68:69]
	;; [unrolled: 1-line block ×6, first 2 shown]
	v_add_f64_e32 v[72:73], v[24:25], v[28:29]
	v_mul_f64_e32 v[98:99], s[14:15], v[36:37]
	v_add_f64_e32 v[74:75], v[26:27], v[30:31]
	v_mul_f64_e32 v[102:103], s[34:35], v[36:37]
	v_mul_f64_e32 v[106:107], s[20:21], v[36:37]
	;; [unrolled: 1-line block ×6, first 2 shown]
	v_add_f64_e64 v[76:77], v[24:25], -v[28:29]
	v_add_f64_e64 v[78:79], v[26:27], -v[30:31]
	v_mul_f64_e32 v[38:39], s[26:27], v[38:39]
	v_mul_f64_e32 v[136:137], s[30:31], v[68:69]
	;; [unrolled: 1-line block ×5, first 2 shown]
	v_add_f64_e32 v[8:9], v[8:9], v[14:15]
	v_add_f64_e32 v[4:5], v[4:5], v[12:13]
	v_mul_f64_e32 v[12:13], s[26:27], v[36:37]
	v_mul_f64_e32 v[14:15], s[36:37], v[34:35]
	v_fma_f64 v[156:157], v[40:41], s[14:15], v[84:85]
	v_fma_f64 v[158:159], v[0:1], s[16:17], v[86:87]
	v_fma_f64 v[84:85], v[40:41], s[14:15], -v[84:85]
	v_fma_f64 v[160:161], v[40:41], s[20:21], v[88:89]
	v_fma_f64 v[162:163], v[0:1], s[22:23], v[90:91]
	v_fma_f64 v[88:89], v[40:41], s[20:21], -v[88:89]
	v_fma_f64 v[167:168], v[40:41], s[26:27], v[92:93]
	v_fma_f64 v[169:170], v[0:1], s[28:29], v[94:95]
	v_mul_f64_e32 v[34:35], s[10:11], v[34:35]
	v_mul_f64_e32 v[36:37], s[8:9], v[36:37]
	v_fma_f64 v[92:93], v[40:41], s[26:27], -v[92:93]
	v_fma_f64 v[171:172], v[40:41], s[34:35], v[32:33]
	v_fma_f64 v[173:174], v[0:1], s[36:37], v[2:3]
	;; [unrolled: 1-line block ×5, first 2 shown]
	v_fma_f64 v[32:33], v[40:41], s[34:35], -v[32:33]
	v_mul_f64_e32 v[108:109], s[18:19], v[10:11]
	v_mul_f64_e32 v[112:113], s[36:37], v[10:11]
	v_fma_f64 v[175:176], v[42:43], s[26:27], v[100:101]
	v_mul_f64_e32 v[142:143], s[34:35], v[74:75]
	v_mul_f64_e32 v[146:147], s[8:9], v[74:75]
	v_mul_f64_e32 v[150:151], s[26:27], v[74:75]
	v_mul_f64_e32 v[154:155], s[14:15], v[74:75]
	v_mul_f64_e32 v[116:117], s[16:17], v[10:11]
	v_fma_f64 v[100:101], v[42:43], s[26:27], -v[100:101]
	v_fma_f64 v[181:182], v[6:7], s[30:31], v[102:103]
	v_mul_f64_e32 v[120:121], s[2:3], v[10:11]
	v_fma_f64 v[183:184], v[42:43], s[20:21], v[104:105]
	v_fma_f64 v[185:186], v[6:7], s[18:19], v[106:107]
	v_mul_f64_e32 v[10:11], s[24:25], v[10:11]
	v_fma_f64 v[104:105], v[42:43], s[20:21], -v[104:105]
	v_fma_f64 v[102:103], v[6:7], s[36:37], v[102:103]
	v_fma_f64 v[189:190], v[62:63], s[30:31], v[114:115]
	v_add_f64_e32 v[8:9], v[8:9], v[16:17]
	v_add_f64_e32 v[4:5], v[4:5], v[18:19]
	v_mul_f64_e32 v[16:17], s[20:21], v[74:75]
	v_fma_f64 v[18:19], v[40:41], s[8:9], v[80:81]
	v_fma_f64 v[74:75], v[0:1], s[10:11], v[82:83]
	v_fma_f64 v[80:81], v[40:41], s[8:9], -v[80:81]
	v_fma_f64 v[82:83], v[0:1], s[2:3], v[82:83]
	v_fma_f64 v[0:1], v[0:1], s[30:31], v[2:3]
	;; [unrolled: 1-line block ×4, first 2 shown]
	v_fma_f64 v[96:97], v[42:43], s[14:15], -v[96:97]
	v_fma_f64 v[98:99], v[6:7], s[12:13], v[98:99]
	v_fma_f64 v[177:178], v[6:7], s[28:29], v[12:13]
	v_add_f64_e32 v[156:157], v[44:45], v[156:157]
	v_add_f64_e32 v[158:159], v[46:47], v[158:159]
	v_fma_f64 v[179:180], v[42:43], s[34:35], v[14:15]
	v_add_f64_e32 v[84:85], v[44:45], v[84:85]
	v_add_f64_e32 v[160:161], v[44:45], v[160:161]
	;; [unrolled: 1-line block ×3, first 2 shown]
	v_fma_f64 v[14:15], v[42:43], s[34:35], -v[14:15]
	v_add_f64_e32 v[88:89], v[44:45], v[88:89]
	v_add_f64_e32 v[167:168], v[44:45], v[167:168]
	v_add_f64_e32 v[169:170], v[46:47], v[169:170]
	v_add_f64_e32 v[92:93], v[44:45], v[92:93]
	v_add_f64_e32 v[171:172], v[44:45], v[171:172]
	v_add_f64_e32 v[173:174], v[46:47], v[173:174]
	v_fma_f64 v[12:13], v[6:7], s[24:25], v[12:13]
	v_add_f64_e32 v[32:33], v[44:45], v[32:33]
	v_add_f64_e32 v[90:91], v[46:47], v[90:91]
	;; [unrolled: 1-line block ×3, first 2 shown]
	v_fma_f64 v[187:188], v[60:61], s[34:35], v[112:113]
	v_fma_f64 v[191:192], v[60:61], s[14:15], v[116:117]
	;; [unrolled: 1-line block ×3, first 2 shown]
	v_fma_f64 v[112:113], v[60:61], s[34:35], -v[112:113]
	v_fma_f64 v[116:117], v[60:61], s[14:15], -v[116:117]
	v_mul_f64_e32 v[66:67], s[14:15], v[66:67]
	v_fma_f64 v[118:119], v[62:63], s[16:17], v[118:119]
	v_fma_f64 v[114:115], v[62:63], s[36:37], v[114:115]
	v_add_f64_e32 v[8:9], v[8:9], v[24:25]
	v_add_f64_e32 v[4:5], v[4:5], v[26:27]
	v_fma_f64 v[24:25], v[6:7], s[22:23], v[106:107]
	v_add_f64_e32 v[18:19], v[44:45], v[18:19]
	v_fma_f64 v[26:27], v[42:43], s[8:9], v[34:35]
	v_add_f64_e32 v[80:81], v[44:45], v[80:81]
	v_add_f64_e32 v[82:83], v[46:47], v[82:83]
	v_fma_f64 v[106:107], v[6:7], s[2:3], v[36:37]
	v_fma_f64 v[34:35], v[42:43], s[8:9], -v[34:35]
	v_fma_f64 v[6:7], v[6:7], s[10:11], v[36:37]
	v_add_f64_e32 v[0:1], v[46:47], v[0:1]
	v_add_f64_e32 v[44:45], v[46:47], v[94:95]
	v_fma_f64 v[36:37], v[60:61], s[20:21], v[108:109]
	v_fma_f64 v[42:43], v[62:63], s[22:23], v[110:111]
	;; [unrolled: 1-line block ×4, first 2 shown]
	v_add_f64_e32 v[84:85], v[100:101], v[84:85]
	v_fma_f64 v[108:109], v[60:61], s[20:21], -v[108:109]
	v_add_f64_e32 v[100:101], v[181:182], v[162:163]
	v_mul_f64_e32 v[144:145], s[10:11], v[78:79]
	v_add_f64_e32 v[14:15], v[14:15], v[88:89]
	v_add_f64_e32 v[88:89], v[183:184], v[167:168]
	v_fma_f64 v[195:196], v[64:65], s[20:21], v[128:129]
	v_add_f64_e32 v[92:93], v[104:105], v[92:93]
	v_fma_f64 v[197:198], v[70:71], s[18:19], v[130:131]
	v_mul_f64_e32 v[140:141], s[30:31], v[78:79]
	v_mul_f64_e32 v[148:149], s[24:25], v[78:79]
	;; [unrolled: 1-line block ×3, first 2 shown]
	v_fma_f64 v[128:129], v[64:65], s[20:21], -v[128:129]
	v_add_f64_e32 v[12:13], v[12:13], v[86:87]
	v_fma_f64 v[86:87], v[70:71], s[36:37], v[138:139]
	v_mul_f64_e32 v[78:79], s[18:19], v[78:79]
	v_fma_f64 v[130:131], v[70:71], s[22:23], v[130:131]
	v_add_f64_e32 v[8:9], v[8:9], v[28:29]
	v_add_f64_e32 v[4:5], v[4:5], v[30:31]
	;; [unrolled: 1-line block ×4, first 2 shown]
	v_fma_f64 v[30:31], v[60:61], s[8:9], v[120:121]
	v_add_f64_e32 v[18:19], v[96:97], v[80:81]
	v_add_f64_e32 v[80:81], v[98:99], v[82:83]
	;; [unrolled: 1-line block ×5, first 2 shown]
	v_fma_f64 v[46:47], v[62:63], s[10:11], v[122:123]
	v_add_f64_e32 v[156:157], v[185:186], v[169:170]
	v_fma_f64 v[74:75], v[60:61], s[8:9], -v[120:121]
	v_fma_f64 v[120:121], v[60:61], s[26:27], v[10:11]
	v_fma_f64 v[122:123], v[62:63], s[28:29], v[38:39]
	v_add_f64_e32 v[26:27], v[26:27], v[171:172]
	v_add_f64_e32 v[104:105], v[106:107], v[173:174]
	v_fma_f64 v[10:11], v[60:61], s[26:27], -v[10:11]
	v_fma_f64 v[38:39], v[62:63], s[24:25], v[38:39]
	v_add_f64_e32 v[32:33], v[34:35], v[32:33]
	v_add_f64_e32 v[0:1], v[6:7], v[0:1]
	;; [unrolled: 1-line block ×4, first 2 shown]
	v_fma_f64 v[60:61], v[64:65], s[26:27], v[124:125]
	v_fma_f64 v[34:35], v[64:65], s[8:9], -v[132:133]
	v_fma_f64 v[44:45], v[64:65], s[34:35], v[136:137]
	v_add_f64_e32 v[84:85], v[112:113], v[84:85]
	v_add_f64_e32 v[14:15], v[116:117], v[14:15]
	v_fma_f64 v[106:107], v[64:65], s[14:15], v[68:69]
	v_fma_f64 v[124:125], v[64:65], s[26:27], -v[124:125]
	v_fma_f64 v[90:91], v[64:65], s[34:35], -v[136:137]
	v_fma_f64 v[102:103], v[70:71], s[30:31], v[138:139]
	v_add_f64_e32 v[12:13], v[114:115], v[12:13]
	v_fma_f64 v[62:63], v[70:71], s[28:29], v[126:127]
	v_fma_f64 v[126:127], v[70:71], s[24:25], v[126:127]
	;; [unrolled: 1-line block ×5, first 2 shown]
	v_add_f64_e32 v[8:9], v[8:9], v[20:21]
	v_add_f64_e32 v[4:5], v[4:5], v[22:23]
	v_add_f64_e32 v[20:21], v[40:41], v[28:29]
	v_add_f64_e32 v[2:3], v[36:37], v[2:3]
	v_fma_f64 v[22:23], v[64:65], s[8:9], v[132:133]
	v_fma_f64 v[28:29], v[70:71], s[10:11], v[134:135]
	v_add_f64_e32 v[36:37], v[110:111], v[80:81]
	v_add_f64_e32 v[80:81], v[187:188], v[82:83]
	;; [unrolled: 1-line block ×7, first 2 shown]
	v_fma_f64 v[132:133], v[70:71], s[12:13], v[66:67]
	v_fma_f64 v[64:65], v[64:65], s[14:15], -v[68:69]
	v_add_f64_e32 v[26:27], v[120:121], v[26:27]
	v_add_f64_e32 v[88:89], v[122:123], v[104:105]
	v_fma_f64 v[66:67], v[70:71], s[16:17], v[66:67]
	v_add_f64_e32 v[74:75], v[74:75], v[92:93]
	v_add_f64_e32 v[10:11], v[10:11], v[32:33]
	;; [unrolled: 1-line block ×4, first 2 shown]
	v_fma_f64 v[40:41], v[70:71], s[2:3], v[134:135]
	v_add_f64_e32 v[18:19], v[108:109], v[18:19]
	v_add_f64_e32 v[24:25], v[118:119], v[24:25]
	v_fma_f64 v[32:33], v[72:73], s[8:9], v[144:145]
	v_fma_f64 v[38:39], v[76:77], s[2:3], v[146:147]
	;; [unrolled: 1-line block ×11, first 2 shown]
	v_add_f64_e32 v[76:77], v[128:129], v[84:85]
	v_add_f64_e32 v[14:15], v[34:35], v[14:15]
	;; [unrolled: 1-line block ×6, first 2 shown]
	v_fma_f64 v[42:43], v[72:73], s[8:9], -v[144:145]
	v_fma_f64 v[118:119], v[72:73], s[20:21], v[78:79]
	v_fma_f64 v[70:71], v[72:73], s[34:35], -v[140:141]
	v_add_f64_e32 v[58:59], v[195:196], v[80:81]
	v_add_f64_e32 v[60:61], v[197:198], v[82:83]
	;; [unrolled: 1-line block ×6, first 2 shown]
	v_fma_f64 v[104:105], v[72:73], s[26:27], -v[148:149]
	v_fma_f64 v[114:115], v[72:73], s[14:15], -v[152:153]
	v_add_f64_e32 v[26:27], v[106:107], v[26:27]
	v_add_f64_e32 v[80:81], v[132:133], v[88:89]
	v_fma_f64 v[72:73], v[72:73], s[20:21], -v[78:79]
	v_add_f64_e32 v[46:47], v[90:91], v[74:75]
	v_add_f64_e32 v[10:11], v[64:65], v[10:11]
	;; [unrolled: 1-line block ×8, first 2 shown]
	s_mov_b32 s2, 0x3a88d0c0
	s_mov_b32 s3, 0x3f669147
	v_add_f64_e32 v[8:9], v[8:9], v[54:55]
	v_add_f64_e32 v[4:5], v[4:5], v[50:51]
	;; [unrolled: 1-line block ×5, first 2 shown]
	v_mad_co_u64_u32 v[2:3], null, s4, v165, 0
	v_add_f64_e32 v[58:59], v[32:33], v[58:59]
	v_add_f64_e32 v[60:61], v[38:39], v[60:61]
	;; [unrolled: 1-line block ×17, first 2 shown]
	v_mad_co_u64_u32 v[0:1], null, s6, v164, 0
	v_add_f64_e32 v[50:51], v[8:9], v[52:53]
	v_add_f64_e32 v[52:53], v[4:5], v[48:49]
	v_add_f64_e32 v[46:47], v[134:135], v[20:21]
	s_delay_alu instid0(VALU_DEP_4)
	v_mad_co_u64_u32 v[4:5], null, s7, v164, v[1:2]
	ds_store_b128 v166, v[58:61] offset:1056
	ds_store_b128 v166, v[66:69] offset:1584
	;; [unrolled: 1-line block ×9, first 2 shown]
	ds_store_b128 v166, v[50:53]
	ds_store_b128 v166, v[44:47] offset:528
	global_wb scope:SCOPE_SE
	s_wait_dscnt 0x0
	s_barrier_signal -1
	s_barrier_wait -1
	global_inv scope:SCOPE_SE
	ds_load_b128 v[44:47], v166
	ds_load_b128 v[48:51], v166 offset:528
	ds_load_b128 v[52:55], v166 offset:1056
	ds_load_b128 v[56:59], v166 offset:1584
	ds_load_b128 v[60:63], v166 offset:2112
	ds_load_b128 v[64:67], v166 offset:2640
	ds_load_b128 v[68:71], v166 offset:3168
	ds_load_b128 v[72:75], v166 offset:3696
	ds_load_b128 v[76:79], v166 offset:4224
	ds_load_b128 v[80:83], v166 offset:4752
	ds_load_b128 v[84:87], v166 offset:5280
	s_clause 0x1
	scratch_load_b128 v[96:99], off, off offset:20 th:TH_LOAD_LU
	scratch_load_b128 v[116:119], off, off offset:164 th:TH_LOAD_LU
	v_mad_co_u64_u32 v[5:6], null, s5, v165, v[3:4]
	v_mov_b32_e32 v1, v4
	s_delay_alu instid0(VALU_DEP_1) | instskip(NEXT) | instid1(VALU_DEP_3)
	v_lshlrev_b64_e32 v[0:1], 4, v[0:1]
	v_mov_b32_e32 v3, v5
	s_delay_alu instid0(VALU_DEP_1) | instskip(NEXT) | instid1(VALU_DEP_3)
	v_lshlrev_b64_e32 v[2:3], 4, v[2:3]
	v_add_co_u32 v0, vcc_lo, s0, v0
	s_wait_alu 0xfffd
	s_delay_alu instid0(VALU_DEP_4) | instskip(SKIP_1) | instid1(VALU_DEP_2)
	v_add_co_ci_u32_e32 v1, vcc_lo, s1, v1, vcc_lo
	s_mul_u64 s[0:1], s[4:5], 0x210
	v_add_co_u32 v92, vcc_lo, v0, v2
	s_wait_alu 0xfffd
	s_delay_alu instid0(VALU_DEP_2) | instskip(SKIP_1) | instid1(VALU_DEP_2)
	v_add_co_ci_u32_e32 v93, vcc_lo, v1, v3, vcc_lo
	s_wait_alu 0xfffe
	v_add_co_u32 v94, vcc_lo, v92, s0
	s_wait_alu 0xfffd
	s_delay_alu instid0(VALU_DEP_2)
	v_add_co_ci_u32_e32 v95, vcc_lo, s1, v93, vcc_lo
	s_wait_loadcnt_dscnt 0x10a
	v_mul_f64_e32 v[4:5], v[98:99], v[46:47]
	v_mul_f64_e32 v[6:7], v[98:99], v[44:45]
	scratch_load_b128 v[98:101], off, off offset:36 th:TH_LOAD_LU ; 16-byte Folded Reload
	s_wait_loadcnt_dscnt 0x102
	v_mul_f64_e32 v[36:37], v[118:119], v[78:79]
	v_mul_f64_e32 v[38:39], v[118:119], v[76:77]
	scratch_load_b128 v[118:121], off, off offset:180 th:TH_LOAD_LU ; 16-byte Folded Reload
	v_fma_f64 v[0:1], v[96:97], v[44:45], v[4:5]
	v_fma_f64 v[2:3], v[96:97], v[46:47], -v[6:7]
	v_add_co_u32 v44, vcc_lo, v94, s0
	s_wait_alu 0xfffd
	v_add_co_ci_u32_e32 v45, vcc_lo, s1, v95, vcc_lo
	s_delay_alu instid0(VALU_DEP_2) | instskip(SKIP_1) | instid1(VALU_DEP_2)
	v_add_co_u32 v46, vcc_lo, v44, s0
	s_wait_alu 0xfffd
	v_add_co_ci_u32_e32 v47, vcc_lo, s1, v45, vcc_lo
	v_mul_f64_e32 v[0:1], s[2:3], v[0:1]
	v_mul_f64_e32 v[2:3], s[2:3], v[2:3]
	s_wait_loadcnt 0x1
	v_mul_f64_e32 v[8:9], v[100:101], v[50:51]
	v_mul_f64_e32 v[10:11], v[100:101], v[48:49]
	scratch_load_b128 v[100:103], off, off offset:52 th:TH_LOAD_LU ; 16-byte Folded Reload
	s_wait_loadcnt_dscnt 0x100
	v_mul_f64_e32 v[88:89], v[120:121], v[86:87]
	v_mul_f64_e32 v[90:91], v[120:121], v[84:85]
	v_fma_f64 v[4:5], v[98:99], v[48:49], v[8:9]
	v_fma_f64 v[6:7], v[98:99], v[50:51], -v[10:11]
	v_add_co_u32 v48, vcc_lo, v46, s0
	s_wait_alu 0xfffd
	v_add_co_ci_u32_e32 v49, vcc_lo, s1, v47, vcc_lo
	s_delay_alu instid0(VALU_DEP_2) | instskip(SKIP_1) | instid1(VALU_DEP_2)
	v_add_co_u32 v50, vcc_lo, v48, s0
	s_wait_alu 0xfffd
	v_add_co_ci_u32_e32 v51, vcc_lo, s1, v49, vcc_lo
	v_mul_f64_e32 v[4:5], s[2:3], v[4:5]
	v_mul_f64_e32 v[6:7], s[2:3], v[6:7]
	s_wait_loadcnt 0x0
	v_mul_f64_e32 v[12:13], v[102:103], v[54:55]
	v_mul_f64_e32 v[14:15], v[102:103], v[52:53]
	scratch_load_b128 v[102:105], off, off offset:68 th:TH_LOAD_LU ; 16-byte Folded Reload
	v_fma_f64 v[8:9], v[100:101], v[52:53], v[12:13]
	v_fma_f64 v[10:11], v[100:101], v[54:55], -v[14:15]
	v_add_co_u32 v52, vcc_lo, v50, s0
	s_wait_alu 0xfffd
	v_add_co_ci_u32_e32 v53, vcc_lo, s1, v51, vcc_lo
	s_delay_alu instid0(VALU_DEP_2) | instskip(SKIP_1) | instid1(VALU_DEP_2)
	v_add_co_u32 v54, vcc_lo, v52, s0
	s_wait_alu 0xfffd
	v_add_co_ci_u32_e32 v55, vcc_lo, s1, v53, vcc_lo
	v_mul_f64_e32 v[8:9], s[2:3], v[8:9]
	v_mul_f64_e32 v[10:11], s[2:3], v[10:11]
	s_wait_loadcnt 0x0
	v_mul_f64_e32 v[16:17], v[104:105], v[58:59]
	v_mul_f64_e32 v[18:19], v[104:105], v[56:57]
	scratch_load_b128 v[104:107], off, off offset:84 th:TH_LOAD_LU ; 16-byte Folded Reload
	;; [unrolled: 15-line block ×3, first 2 shown]
	v_fma_f64 v[16:17], v[104:105], v[60:61], v[20:21]
	v_fma_f64 v[18:19], v[104:105], v[62:63], -v[22:23]
	v_add_co_u32 v60, vcc_lo, v58, s0
	s_wait_alu 0xfffd
	v_add_co_ci_u32_e32 v61, vcc_lo, s1, v59, vcc_lo
	s_delay_alu instid0(VALU_DEP_4) | instskip(NEXT) | instid1(VALU_DEP_4)
	v_mul_f64_e32 v[16:17], s[2:3], v[16:17]
	v_mul_f64_e32 v[18:19], s[2:3], v[18:19]
	s_wait_loadcnt 0x0
	v_mul_f64_e32 v[24:25], v[108:109], v[66:67]
	v_mul_f64_e32 v[26:27], v[108:109], v[64:65]
	scratch_load_b128 v[108:111], off, off offset:116 th:TH_LOAD_LU ; 16-byte Folded Reload
	v_fma_f64 v[20:21], v[106:107], v[64:65], v[24:25]
	v_fma_f64 v[22:23], v[106:107], v[66:67], -v[26:27]
	s_delay_alu instid0(VALU_DEP_2) | instskip(NEXT) | instid1(VALU_DEP_2)
	v_mul_f64_e32 v[20:21], s[2:3], v[20:21]
	v_mul_f64_e32 v[22:23], s[2:3], v[22:23]
	s_wait_loadcnt 0x0
	v_mul_f64_e32 v[28:29], v[110:111], v[70:71]
	v_mul_f64_e32 v[30:31], v[110:111], v[68:69]
	scratch_load_b128 v[110:113], off, off offset:132 th:TH_LOAD_LU ; 16-byte Folded Reload
	v_fma_f64 v[24:25], v[108:109], v[68:69], v[28:29]
	v_fma_f64 v[26:27], v[108:109], v[70:71], -v[30:31]
	s_delay_alu instid0(VALU_DEP_2) | instskip(NEXT) | instid1(VALU_DEP_2)
	v_mul_f64_e32 v[24:25], s[2:3], v[24:25]
	v_mul_f64_e32 v[26:27], s[2:3], v[26:27]
	s_wait_loadcnt 0x0
	v_mul_f64_e32 v[32:33], v[112:113], v[74:75]
	v_mul_f64_e32 v[34:35], v[112:113], v[72:73]
	scratch_load_b128 v[112:115], off, off offset:148 th:TH_LOAD_LU ; 16-byte Folded Reload
	v_fma_f64 v[28:29], v[110:111], v[72:73], v[32:33]
	v_fma_f64 v[30:31], v[110:111], v[74:75], -v[34:35]
	v_fma_f64 v[32:33], v[116:117], v[76:77], v[36:37]
	v_fma_f64 v[34:35], v[116:117], v[78:79], -v[38:39]
	s_delay_alu instid0(VALU_DEP_4) | instskip(NEXT) | instid1(VALU_DEP_4)
	v_mul_f64_e32 v[28:29], s[2:3], v[28:29]
	v_mul_f64_e32 v[30:31], s[2:3], v[30:31]
	s_delay_alu instid0(VALU_DEP_4) | instskip(NEXT) | instid1(VALU_DEP_4)
	v_mul_f64_e32 v[32:33], s[2:3], v[32:33]
	v_mul_f64_e32 v[34:35], s[2:3], v[34:35]
	s_wait_loadcnt 0x0
	v_mul_f64_e32 v[40:41], v[114:115], v[82:83]
	v_mul_f64_e32 v[42:43], v[114:115], v[80:81]
	s_delay_alu instid0(VALU_DEP_2) | instskip(NEXT) | instid1(VALU_DEP_2)
	v_fma_f64 v[36:37], v[112:113], v[80:81], v[40:41]
	v_fma_f64 v[38:39], v[112:113], v[82:83], -v[42:43]
	v_fma_f64 v[40:41], v[118:119], v[84:85], v[88:89]
	v_fma_f64 v[42:43], v[118:119], v[86:87], -v[90:91]
	s_delay_alu instid0(VALU_DEP_4) | instskip(NEXT) | instid1(VALU_DEP_4)
	v_mul_f64_e32 v[36:37], s[2:3], v[36:37]
	v_mul_f64_e32 v[38:39], s[2:3], v[38:39]
	s_delay_alu instid0(VALU_DEP_4) | instskip(NEXT) | instid1(VALU_DEP_4)
	v_mul_f64_e32 v[40:41], s[2:3], v[40:41]
	v_mul_f64_e32 v[42:43], s[2:3], v[42:43]
	s_clause 0x4
	global_store_b128 v[92:93], v[0:3], off
	global_store_b128 v[94:95], v[4:7], off
	;; [unrolled: 1-line block ×11, first 2 shown]
.LBB0_10:
	s_nop 0
	s_sendmsg sendmsg(MSG_DEALLOC_VGPRS)
	s_endpgm
	.section	.rodata,"a",@progbits
	.p2align	6, 0x0
	.amdhsa_kernel bluestein_single_back_len363_dim1_dp_op_CI_CI
		.amdhsa_group_segment_fixed_size 17424
		.amdhsa_private_segment_fixed_size 240
		.amdhsa_kernarg_size 104
		.amdhsa_user_sgpr_count 2
		.amdhsa_user_sgpr_dispatch_ptr 0
		.amdhsa_user_sgpr_queue_ptr 0
		.amdhsa_user_sgpr_kernarg_segment_ptr 1
		.amdhsa_user_sgpr_dispatch_id 0
		.amdhsa_user_sgpr_private_segment_size 0
		.amdhsa_wavefront_size32 1
		.amdhsa_uses_dynamic_stack 0
		.amdhsa_enable_private_segment 1
		.amdhsa_system_sgpr_workgroup_id_x 1
		.amdhsa_system_sgpr_workgroup_id_y 0
		.amdhsa_system_sgpr_workgroup_id_z 0
		.amdhsa_system_sgpr_workgroup_info 0
		.amdhsa_system_vgpr_workitem_id 0
		.amdhsa_next_free_vgpr 256
		.amdhsa_next_free_sgpr 38
		.amdhsa_reserve_vcc 1
		.amdhsa_float_round_mode_32 0
		.amdhsa_float_round_mode_16_64 0
		.amdhsa_float_denorm_mode_32 3
		.amdhsa_float_denorm_mode_16_64 3
		.amdhsa_fp16_overflow 0
		.amdhsa_workgroup_processor_mode 1
		.amdhsa_memory_ordered 1
		.amdhsa_forward_progress 0
		.amdhsa_round_robin_scheduling 0
		.amdhsa_exception_fp_ieee_invalid_op 0
		.amdhsa_exception_fp_denorm_src 0
		.amdhsa_exception_fp_ieee_div_zero 0
		.amdhsa_exception_fp_ieee_overflow 0
		.amdhsa_exception_fp_ieee_underflow 0
		.amdhsa_exception_fp_ieee_inexact 0
		.amdhsa_exception_int_div_zero 0
	.end_amdhsa_kernel
	.text
.Lfunc_end0:
	.size	bluestein_single_back_len363_dim1_dp_op_CI_CI, .Lfunc_end0-bluestein_single_back_len363_dim1_dp_op_CI_CI
                                        ; -- End function
	.section	.AMDGPU.csdata,"",@progbits
; Kernel info:
; codeLenInByte = 15192
; NumSgprs: 40
; NumVgprs: 256
; ScratchSize: 240
; MemoryBound: 0
; FloatMode: 240
; IeeeMode: 1
; LDSByteSize: 17424 bytes/workgroup (compile time only)
; SGPRBlocks: 4
; VGPRBlocks: 31
; NumSGPRsForWavesPerEU: 40
; NumVGPRsForWavesPerEU: 256
; Occupancy: 5
; WaveLimiterHint : 1
; COMPUTE_PGM_RSRC2:SCRATCH_EN: 1
; COMPUTE_PGM_RSRC2:USER_SGPR: 2
; COMPUTE_PGM_RSRC2:TRAP_HANDLER: 0
; COMPUTE_PGM_RSRC2:TGID_X_EN: 1
; COMPUTE_PGM_RSRC2:TGID_Y_EN: 0
; COMPUTE_PGM_RSRC2:TGID_Z_EN: 0
; COMPUTE_PGM_RSRC2:TIDIG_COMP_CNT: 0
	.text
	.p2alignl 7, 3214868480
	.fill 96, 4, 3214868480
	.type	__hip_cuid_74c85b822e18ac0a,@object ; @__hip_cuid_74c85b822e18ac0a
	.section	.bss,"aw",@nobits
	.globl	__hip_cuid_74c85b822e18ac0a
__hip_cuid_74c85b822e18ac0a:
	.byte	0                               ; 0x0
	.size	__hip_cuid_74c85b822e18ac0a, 1

	.ident	"AMD clang version 19.0.0git (https://github.com/RadeonOpenCompute/llvm-project roc-6.4.0 25133 c7fe45cf4b819c5991fe208aaa96edf142730f1d)"
	.section	".note.GNU-stack","",@progbits
	.addrsig
	.addrsig_sym __hip_cuid_74c85b822e18ac0a
	.amdgpu_metadata
---
amdhsa.kernels:
  - .args:
      - .actual_access:  read_only
        .address_space:  global
        .offset:         0
        .size:           8
        .value_kind:     global_buffer
      - .actual_access:  read_only
        .address_space:  global
        .offset:         8
        .size:           8
        .value_kind:     global_buffer
      - .actual_access:  read_only
        .address_space:  global
        .offset:         16
        .size:           8
        .value_kind:     global_buffer
      - .actual_access:  read_only
        .address_space:  global
        .offset:         24
        .size:           8
        .value_kind:     global_buffer
      - .actual_access:  read_only
        .address_space:  global
        .offset:         32
        .size:           8
        .value_kind:     global_buffer
      - .offset:         40
        .size:           8
        .value_kind:     by_value
      - .address_space:  global
        .offset:         48
        .size:           8
        .value_kind:     global_buffer
      - .address_space:  global
        .offset:         56
        .size:           8
        .value_kind:     global_buffer
      - .address_space:  global
        .offset:         64
        .size:           8
        .value_kind:     global_buffer
      - .address_space:  global
        .offset:         72
        .size:           8
        .value_kind:     global_buffer
      - .offset:         80
        .size:           4
        .value_kind:     by_value
      - .address_space:  global
        .offset:         88
        .size:           8
        .value_kind:     global_buffer
      - .address_space:  global
        .offset:         96
        .size:           8
        .value_kind:     global_buffer
    .group_segment_fixed_size: 17424
    .kernarg_segment_align: 8
    .kernarg_segment_size: 104
    .language:       OpenCL C
    .language_version:
      - 2
      - 0
    .max_flat_workgroup_size: 99
    .name:           bluestein_single_back_len363_dim1_dp_op_CI_CI
    .private_segment_fixed_size: 240
    .sgpr_count:     40
    .sgpr_spill_count: 0
    .symbol:         bluestein_single_back_len363_dim1_dp_op_CI_CI.kd
    .uniform_work_group_size: 1
    .uses_dynamic_stack: false
    .vgpr_count:     256
    .vgpr_spill_count: 63
    .wavefront_size: 32
    .workgroup_processor_mode: 1
amdhsa.target:   amdgcn-amd-amdhsa--gfx1201
amdhsa.version:
  - 1
  - 2
...

	.end_amdgpu_metadata
